;; amdgpu-corpus repo=ROCm/rocFFT kind=compiled arch=gfx1201 opt=O3
	.text
	.amdgcn_target "amdgcn-amd-amdhsa--gfx1201"
	.amdhsa_code_object_version 6
	.protected	fft_rtc_back_len1001_factors_13_7_11_wgs_182_tpt_91_halfLds_half_ip_CI_sbrr_dirReg ; -- Begin function fft_rtc_back_len1001_factors_13_7_11_wgs_182_tpt_91_halfLds_half_ip_CI_sbrr_dirReg
	.globl	fft_rtc_back_len1001_factors_13_7_11_wgs_182_tpt_91_halfLds_half_ip_CI_sbrr_dirReg
	.p2align	8
	.type	fft_rtc_back_len1001_factors_13_7_11_wgs_182_tpt_91_halfLds_half_ip_CI_sbrr_dirReg,@function
fft_rtc_back_len1001_factors_13_7_11_wgs_182_tpt_91_halfLds_half_ip_CI_sbrr_dirReg: ; @fft_rtc_back_len1001_factors_13_7_11_wgs_182_tpt_91_halfLds_half_ip_CI_sbrr_dirReg
; %bb.0:
	s_clause 0x2
	s_load_b64 s[12:13], s[0:1], 0x18
	s_load_b128 s[4:7], s[0:1], 0x0
	s_load_b64 s[10:11], s[0:1], 0x50
	v_mul_u32_u24_e32 v1, 0x2d1, v0
	v_mov_b32_e32 v3, 0
	s_delay_alu instid0(VALU_DEP_2) | instskip(SKIP_2) | instid1(VALU_DEP_4)
	v_lshrrev_b32_e32 v13, 16, v1
	v_mov_b32_e32 v1, 0
	v_mov_b32_e32 v2, 0
	;; [unrolled: 1-line block ×3, first 2 shown]
	s_delay_alu instid0(VALU_DEP_4) | instskip(SKIP_3) | instid1(VALU_DEP_1)
	v_lshl_add_u32 v5, ttmp9, 1, v13
	s_wait_kmcnt 0x0
	s_load_b64 s[8:9], s[12:13], 0x0
	v_cmp_lt_u64_e64 s2, s[6:7], 2
	s_and_b32 vcc_lo, exec_lo, s2
	s_cbranch_vccnz .LBB0_8
; %bb.1:
	s_load_b64 s[2:3], s[0:1], 0x10
	v_mov_b32_e32 v1, 0
	v_mov_b32_e32 v2, 0
	s_add_nc_u64 s[14:15], s[12:13], 8
	s_mov_b64 s[16:17], 1
	s_wait_kmcnt 0x0
	s_add_nc_u64 s[18:19], s[2:3], 8
	s_mov_b32 s3, 0
.LBB0_2:                                ; =>This Inner Loop Header: Depth=1
	s_load_b64 s[20:21], s[18:19], 0x0
                                        ; implicit-def: $vgpr10_vgpr11
	s_mov_b32 s2, exec_lo
	s_wait_kmcnt 0x0
	v_or_b32_e32 v4, s21, v6
	s_delay_alu instid0(VALU_DEP_1)
	v_cmpx_ne_u64_e32 0, v[3:4]
	s_wait_alu 0xfffe
	s_xor_b32 s22, exec_lo, s2
	s_cbranch_execz .LBB0_4
; %bb.3:                                ;   in Loop: Header=BB0_2 Depth=1
	s_cvt_f32_u32 s2, s20
	s_cvt_f32_u32 s23, s21
	s_sub_nc_u64 s[26:27], 0, s[20:21]
	s_wait_alu 0xfffe
	s_delay_alu instid0(SALU_CYCLE_1) | instskip(SKIP_1) | instid1(SALU_CYCLE_2)
	s_fmamk_f32 s2, s23, 0x4f800000, s2
	s_wait_alu 0xfffe
	v_s_rcp_f32 s2, s2
	s_delay_alu instid0(TRANS32_DEP_1) | instskip(SKIP_1) | instid1(SALU_CYCLE_2)
	s_mul_f32 s2, s2, 0x5f7ffffc
	s_wait_alu 0xfffe
	s_mul_f32 s23, s2, 0x2f800000
	s_wait_alu 0xfffe
	s_delay_alu instid0(SALU_CYCLE_2) | instskip(SKIP_1) | instid1(SALU_CYCLE_2)
	s_trunc_f32 s23, s23
	s_wait_alu 0xfffe
	s_fmamk_f32 s2, s23, 0xcf800000, s2
	s_cvt_u32_f32 s25, s23
	s_wait_alu 0xfffe
	s_delay_alu instid0(SALU_CYCLE_1) | instskip(SKIP_1) | instid1(SALU_CYCLE_2)
	s_cvt_u32_f32 s24, s2
	s_wait_alu 0xfffe
	s_mul_u64 s[28:29], s[26:27], s[24:25]
	s_wait_alu 0xfffe
	s_mul_hi_u32 s31, s24, s29
	s_mul_i32 s30, s24, s29
	s_mul_hi_u32 s2, s24, s28
	s_mul_i32 s33, s25, s28
	s_wait_alu 0xfffe
	s_add_nc_u64 s[30:31], s[2:3], s[30:31]
	s_mul_hi_u32 s23, s25, s28
	s_mul_hi_u32 s34, s25, s29
	s_add_co_u32 s2, s30, s33
	s_wait_alu 0xfffe
	s_add_co_ci_u32 s2, s31, s23
	s_mul_i32 s28, s25, s29
	s_add_co_ci_u32 s29, s34, 0
	s_wait_alu 0xfffe
	s_add_nc_u64 s[28:29], s[2:3], s[28:29]
	s_wait_alu 0xfffe
	v_add_co_u32 v4, s2, s24, s28
	s_delay_alu instid0(VALU_DEP_1) | instskip(SKIP_1) | instid1(VALU_DEP_1)
	s_cmp_lg_u32 s2, 0
	s_add_co_ci_u32 s25, s25, s29
	v_readfirstlane_b32 s24, v4
	s_wait_alu 0xfffe
	s_delay_alu instid0(VALU_DEP_1)
	s_mul_u64 s[26:27], s[26:27], s[24:25]
	s_wait_alu 0xfffe
	s_mul_hi_u32 s29, s24, s27
	s_mul_i32 s28, s24, s27
	s_mul_hi_u32 s2, s24, s26
	s_mul_i32 s30, s25, s26
	s_wait_alu 0xfffe
	s_add_nc_u64 s[28:29], s[2:3], s[28:29]
	s_mul_hi_u32 s23, s25, s26
	s_mul_hi_u32 s24, s25, s27
	s_wait_alu 0xfffe
	s_add_co_u32 s2, s28, s30
	s_add_co_ci_u32 s2, s29, s23
	s_mul_i32 s26, s25, s27
	s_add_co_ci_u32 s27, s24, 0
	s_wait_alu 0xfffe
	s_add_nc_u64 s[26:27], s[2:3], s[26:27]
	s_wait_alu 0xfffe
	v_add_co_u32 v4, s2, v4, s26
	s_delay_alu instid0(VALU_DEP_1) | instskip(SKIP_1) | instid1(VALU_DEP_1)
	s_cmp_lg_u32 s2, 0
	s_add_co_ci_u32 s2, s25, s27
	v_mul_hi_u32 v14, v5, v4
	s_wait_alu 0xfffe
	v_mad_co_u64_u32 v[7:8], null, v5, s2, 0
	v_mad_co_u64_u32 v[9:10], null, v6, v4, 0
	;; [unrolled: 1-line block ×3, first 2 shown]
	s_delay_alu instid0(VALU_DEP_3) | instskip(SKIP_1) | instid1(VALU_DEP_4)
	v_add_co_u32 v4, vcc_lo, v14, v7
	s_wait_alu 0xfffd
	v_add_co_ci_u32_e32 v7, vcc_lo, 0, v8, vcc_lo
	s_delay_alu instid0(VALU_DEP_2) | instskip(SKIP_1) | instid1(VALU_DEP_2)
	v_add_co_u32 v4, vcc_lo, v4, v9
	s_wait_alu 0xfffd
	v_add_co_ci_u32_e32 v4, vcc_lo, v7, v10, vcc_lo
	s_wait_alu 0xfffd
	v_add_co_ci_u32_e32 v7, vcc_lo, 0, v12, vcc_lo
	s_delay_alu instid0(VALU_DEP_2) | instskip(SKIP_1) | instid1(VALU_DEP_2)
	v_add_co_u32 v4, vcc_lo, v4, v11
	s_wait_alu 0xfffd
	v_add_co_ci_u32_e32 v9, vcc_lo, 0, v7, vcc_lo
	s_delay_alu instid0(VALU_DEP_2) | instskip(SKIP_1) | instid1(VALU_DEP_3)
	v_mul_lo_u32 v10, s21, v4
	v_mad_co_u64_u32 v[7:8], null, s20, v4, 0
	v_mul_lo_u32 v11, s20, v9
	s_delay_alu instid0(VALU_DEP_2) | instskip(NEXT) | instid1(VALU_DEP_2)
	v_sub_co_u32 v7, vcc_lo, v5, v7
	v_add3_u32 v8, v8, v11, v10
	s_delay_alu instid0(VALU_DEP_1) | instskip(SKIP_1) | instid1(VALU_DEP_1)
	v_sub_nc_u32_e32 v10, v6, v8
	s_wait_alu 0xfffd
	v_subrev_co_ci_u32_e64 v10, s2, s21, v10, vcc_lo
	v_add_co_u32 v11, s2, v4, 2
	s_wait_alu 0xf1ff
	v_add_co_ci_u32_e64 v12, s2, 0, v9, s2
	v_sub_co_u32 v14, s2, v7, s20
	v_sub_co_ci_u32_e32 v8, vcc_lo, v6, v8, vcc_lo
	s_wait_alu 0xf1ff
	v_subrev_co_ci_u32_e64 v10, s2, 0, v10, s2
	s_delay_alu instid0(VALU_DEP_3) | instskip(NEXT) | instid1(VALU_DEP_3)
	v_cmp_le_u32_e32 vcc_lo, s20, v14
	v_cmp_eq_u32_e64 s2, s21, v8
	s_wait_alu 0xfffd
	v_cndmask_b32_e64 v14, 0, -1, vcc_lo
	v_cmp_le_u32_e32 vcc_lo, s21, v10
	s_wait_alu 0xfffd
	v_cndmask_b32_e64 v15, 0, -1, vcc_lo
	v_cmp_le_u32_e32 vcc_lo, s20, v7
	;; [unrolled: 3-line block ×3, first 2 shown]
	s_wait_alu 0xfffd
	v_cndmask_b32_e64 v16, 0, -1, vcc_lo
	v_cmp_eq_u32_e32 vcc_lo, s21, v10
	s_wait_alu 0xf1ff
	s_delay_alu instid0(VALU_DEP_2)
	v_cndmask_b32_e64 v7, v16, v7, s2
	s_wait_alu 0xfffd
	v_cndmask_b32_e32 v10, v15, v14, vcc_lo
	v_add_co_u32 v14, vcc_lo, v4, 1
	s_wait_alu 0xfffd
	v_add_co_ci_u32_e32 v15, vcc_lo, 0, v9, vcc_lo
	s_delay_alu instid0(VALU_DEP_3) | instskip(SKIP_1) | instid1(VALU_DEP_2)
	v_cmp_ne_u32_e32 vcc_lo, 0, v10
	s_wait_alu 0xfffd
	v_cndmask_b32_e32 v8, v15, v12, vcc_lo
	v_cndmask_b32_e32 v10, v14, v11, vcc_lo
	v_cmp_ne_u32_e32 vcc_lo, 0, v7
	s_wait_alu 0xfffd
	s_delay_alu instid0(VALU_DEP_2)
	v_dual_cndmask_b32 v11, v9, v8 :: v_dual_cndmask_b32 v10, v4, v10
.LBB0_4:                                ;   in Loop: Header=BB0_2 Depth=1
	s_wait_alu 0xfffe
	s_and_not1_saveexec_b32 s2, s22
	s_cbranch_execz .LBB0_6
; %bb.5:                                ;   in Loop: Header=BB0_2 Depth=1
	v_cvt_f32_u32_e32 v4, s20
	s_sub_co_i32 s22, 0, s20
	v_mov_b32_e32 v11, v3
	s_delay_alu instid0(VALU_DEP_2) | instskip(NEXT) | instid1(TRANS32_DEP_1)
	v_rcp_iflag_f32_e32 v4, v4
	v_mul_f32_e32 v4, 0x4f7ffffe, v4
	s_delay_alu instid0(VALU_DEP_1) | instskip(SKIP_1) | instid1(VALU_DEP_1)
	v_cvt_u32_f32_e32 v4, v4
	s_wait_alu 0xfffe
	v_mul_lo_u32 v7, s22, v4
	s_delay_alu instid0(VALU_DEP_1) | instskip(NEXT) | instid1(VALU_DEP_1)
	v_mul_hi_u32 v7, v4, v7
	v_add_nc_u32_e32 v4, v4, v7
	s_delay_alu instid0(VALU_DEP_1) | instskip(NEXT) | instid1(VALU_DEP_1)
	v_mul_hi_u32 v4, v5, v4
	v_mul_lo_u32 v7, v4, s20
	v_add_nc_u32_e32 v8, 1, v4
	s_delay_alu instid0(VALU_DEP_2) | instskip(NEXT) | instid1(VALU_DEP_1)
	v_sub_nc_u32_e32 v7, v5, v7
	v_subrev_nc_u32_e32 v9, s20, v7
	v_cmp_le_u32_e32 vcc_lo, s20, v7
	s_wait_alu 0xfffd
	s_delay_alu instid0(VALU_DEP_2) | instskip(NEXT) | instid1(VALU_DEP_1)
	v_dual_cndmask_b32 v7, v7, v9 :: v_dual_cndmask_b32 v4, v4, v8
	v_cmp_le_u32_e32 vcc_lo, s20, v7
	s_delay_alu instid0(VALU_DEP_2) | instskip(SKIP_1) | instid1(VALU_DEP_1)
	v_add_nc_u32_e32 v8, 1, v4
	s_wait_alu 0xfffd
	v_cndmask_b32_e32 v10, v4, v8, vcc_lo
.LBB0_6:                                ;   in Loop: Header=BB0_2 Depth=1
	s_wait_alu 0xfffe
	s_or_b32 exec_lo, exec_lo, s2
	s_load_b64 s[22:23], s[14:15], 0x0
	v_mul_lo_u32 v4, v11, s20
	v_mul_lo_u32 v9, v10, s21
	v_mad_co_u64_u32 v[7:8], null, v10, s20, 0
	s_add_nc_u64 s[16:17], s[16:17], 1
	s_add_nc_u64 s[14:15], s[14:15], 8
	s_wait_alu 0xfffe
	v_cmp_ge_u64_e64 s2, s[16:17], s[6:7]
	s_add_nc_u64 s[18:19], s[18:19], 8
	s_delay_alu instid0(VALU_DEP_2) | instskip(NEXT) | instid1(VALU_DEP_3)
	v_add3_u32 v4, v8, v9, v4
	v_sub_co_u32 v5, vcc_lo, v5, v7
	s_wait_alu 0xfffd
	s_delay_alu instid0(VALU_DEP_2) | instskip(SKIP_3) | instid1(VALU_DEP_2)
	v_sub_co_ci_u32_e32 v4, vcc_lo, v6, v4, vcc_lo
	s_and_b32 vcc_lo, exec_lo, s2
	s_wait_kmcnt 0x0
	v_mul_lo_u32 v6, s23, v5
	v_mul_lo_u32 v4, s22, v4
	v_mad_co_u64_u32 v[1:2], null, s22, v5, v[1:2]
	s_delay_alu instid0(VALU_DEP_1)
	v_add3_u32 v2, v6, v2, v4
	s_wait_alu 0xfffe
	s_cbranch_vccnz .LBB0_9
; %bb.7:                                ;   in Loop: Header=BB0_2 Depth=1
	v_dual_mov_b32 v5, v10 :: v_dual_mov_b32 v6, v11
	s_branch .LBB0_2
.LBB0_8:
	v_dual_mov_b32 v11, v6 :: v_dual_mov_b32 v10, v5
.LBB0_9:
	s_lshl_b64 s[2:3], s[6:7], 3
	v_mul_hi_u32 v3, 0x2d02d03, v0
	s_wait_alu 0xfffe
	s_add_nc_u64 s[2:3], s[12:13], s[2:3]
	v_mov_b32_e32 v16, 0
	s_load_b64 s[2:3], s[2:3], 0x0
	s_load_b64 s[0:1], s[0:1], 0x20
	v_mov_b32_e32 v12, 0
	v_mov_b32_e32 v38, 0
                                        ; implicit-def: $vgpr24
                                        ; implicit-def: $vgpr39
                                        ; implicit-def: $vgpr23
                                        ; implicit-def: $vgpr37
                                        ; implicit-def: $vgpr22
                                        ; implicit-def: $vgpr31
                                        ; implicit-def: $vgpr21
                                        ; implicit-def: $vgpr29
                                        ; implicit-def: $vgpr20
                                        ; implicit-def: $vgpr28
                                        ; implicit-def: $vgpr19
                                        ; implicit-def: $vgpr26
                                        ; implicit-def: $vgpr18
                                        ; implicit-def: $vgpr17
                                        ; implicit-def: $vgpr40
                                        ; implicit-def: $vgpr15
                                        ; implicit-def: $vgpr41
                                        ; implicit-def: $vgpr43
                                        ; implicit-def: $vgpr7
                                        ; implicit-def: $vgpr44
                                        ; implicit-def: $vgpr42
	s_wait_kmcnt 0x0
	v_mul_lo_u32 v4, s2, v11
	v_mul_lo_u32 v5, s3, v10
	v_mad_co_u64_u32 v[8:9], null, s2, v10, v[1:2]
	v_mul_u32_u24_e32 v1, 0x5b, v3
	v_cmp_gt_u64_e32 vcc_lo, s[0:1], v[10:11]
                                        ; implicit-def: $vgpr10
                                        ; implicit-def: $vgpr11
	s_delay_alu instid0(VALU_DEP_2) | instskip(NEXT) | instid1(VALU_DEP_4)
	v_sub_nc_u32_e32 v3, v0, v1
	v_add3_u32 v9, v5, v9, v4
	s_and_saveexec_b32 s1, vcc_lo
	s_cbranch_execz .LBB0_13
; %bb.10:
	s_delay_alu instid0(VALU_DEP_2) | instskip(SKIP_2) | instid1(VALU_DEP_3)
	v_cmp_gt_u32_e64 s0, 0x4d, v3
	v_mov_b32_e32 v38, 0
	v_mov_b32_e32 v16, 0
                                        ; implicit-def: $vgpr42
                                        ; implicit-def: $vgpr11
                                        ; implicit-def: $vgpr44
                                        ; implicit-def: $vgpr7
                                        ; implicit-def: $vgpr43
                                        ; implicit-def: $vgpr10
                                        ; implicit-def: $vgpr41
                                        ; implicit-def: $vgpr15
                                        ; implicit-def: $vgpr40
                                        ; implicit-def: $vgpr17
                                        ; implicit-def: $vgpr18
                                        ; implicit-def: $vgpr26
                                        ; implicit-def: $vgpr19
                                        ; implicit-def: $vgpr28
                                        ; implicit-def: $vgpr20
                                        ; implicit-def: $vgpr29
                                        ; implicit-def: $vgpr21
                                        ; implicit-def: $vgpr31
                                        ; implicit-def: $vgpr22
                                        ; implicit-def: $vgpr37
                                        ; implicit-def: $vgpr23
                                        ; implicit-def: $vgpr39
                                        ; implicit-def: $vgpr24
	s_and_saveexec_b32 s2, s0
	s_cbranch_execz .LBB0_12
; %bb.11:
	v_add_nc_u32_e32 v18, 0x9a, v3
	v_mad_co_u64_u32 v[0:1], null, s8, v3, 0
	v_lshlrev_b64_e32 v[10:11], 2, v[8:9]
	v_add_nc_u32_e32 v26, 0x2b5, v3
	s_delay_alu instid0(VALU_DEP_4) | instskip(SKIP_4) | instid1(VALU_DEP_4)
	v_mad_co_u64_u32 v[6:7], null, s8, v18, 0
	v_add_nc_u32_e32 v12, 0x4d, v3
	v_add_nc_u32_e32 v38, 0x34f, v3
	v_mad_co_u64_u32 v[1:2], null, s9, v3, v[1:2]
	v_add_co_u32 v30, s0, s10, v10
	v_mad_co_u64_u32 v[4:5], null, s8, v12, 0
	v_add_nc_u32_e32 v19, 0xe7, v3
	s_wait_alu 0xf1ff
	v_add_co_ci_u32_e64 v36, s0, s11, v11, s0
	v_lshlrev_b64_e32 v[0:1], 2, v[0:1]
	v_mad_co_u64_u32 v[32:33], null, s8, v26, 0
	v_dual_mov_b32 v2, v5 :: v_dual_mov_b32 v5, v7
	v_mad_co_u64_u32 v[14:15], null, s8, v19, 0
	s_delay_alu instid0(VALU_DEP_4) | instskip(NEXT) | instid1(VALU_DEP_3)
	v_add_co_u32 v0, s0, v30, v0
	v_mad_co_u64_u32 v[10:11], null, s9, v18, v[5:6]
	v_add_nc_u32_e32 v20, 0x134, v3
	v_mad_co_u64_u32 v[16:17], null, s9, v12, v[2:3]
	v_dual_mov_b32 v2, v15 :: v_dual_add_nc_u32 v25, 0x1ce, v3
	s_wait_alu 0xf1ff
	v_add_co_ci_u32_e64 v1, s0, v36, v1, s0
	v_mov_b32_e32 v7, v10
	v_mad_co_u64_u32 v[11:12], null, s8, v20, 0
	v_mov_b32_e32 v5, v16
	v_mad_co_u64_u32 v[15:16], null, s9, v19, v[2:3]
	v_add_nc_u32_e32 v10, 0x181, v3
	v_lshlrev_b64_e32 v[6:7], 2, v[6:7]
	s_delay_alu instid0(VALU_DEP_4) | instskip(SKIP_4) | instid1(VALU_DEP_4)
	v_lshlrev_b64_e32 v[4:5], 2, v[4:5]
	v_mov_b32_e32 v2, v12
	v_add_nc_u32_e32 v44, 0x39c, v3
	v_mad_co_u64_u32 v[40:41], null, s8, v38, 0
	v_lshlrev_b64_e32 v[14:15], 2, v[14:15]
	v_mad_co_u64_u32 v[16:17], null, s9, v20, v[2:3]
	v_mad_co_u64_u32 v[17:18], null, s8, v10, 0
	;; [unrolled: 1-line block ×3, first 2 shown]
	v_add_co_u32 v4, s0, v30, v4
	s_delay_alu instid0(VALU_DEP_4)
	v_mov_b32_e32 v12, v16
	v_add_nc_u32_e32 v16, 0x21b, v3
	v_mov_b32_e32 v2, v18
	s_wait_alu 0xf1ff
	v_add_co_ci_u32_e64 v5, s0, v36, v5, s0
	v_add_co_u32 v6, s0, v30, v6
	v_mad_co_u64_u32 v[21:22], null, s8, v16, 0
	v_mad_co_u64_u32 v[23:24], null, s9, v10, v[2:3]
	v_mov_b32_e32 v2, v20
	v_lshlrev_b64_e32 v[10:11], 2, v[11:12]
	s_wait_alu 0xf1ff
	v_add_co_ci_u32_e64 v7, s0, v36, v7, s0
	v_mov_b32_e32 v12, v22
	v_add_co_u32 v14, s0, v30, v14
	v_mov_b32_e32 v18, v23
	v_mad_co_u64_u32 v[22:23], null, s9, v25, v[2:3]
	s_delay_alu instid0(VALU_DEP_4) | instskip(SKIP_1) | instid1(VALU_DEP_4)
	v_mad_co_u64_u32 v[23:24], null, s9, v16, v[12:13]
	v_add_nc_u32_e32 v12, 0x268, v3
	v_lshlrev_b64_e32 v[16:17], 2, v[17:18]
	s_wait_alu 0xf1ff
	v_add_co_ci_u32_e64 v15, s0, v36, v15, s0
	v_mov_b32_e32 v20, v22
	v_add_co_u32 v10, s0, v30, v10
	v_mov_b32_e32 v22, v23
	v_mad_co_u64_u32 v[23:24], null, s8, v12, 0
	s_delay_alu instid0(VALU_DEP_4)
	v_lshlrev_b64_e32 v[18:19], 2, v[19:20]
	s_wait_alu 0xf1ff
	v_add_co_ci_u32_e64 v11, s0, v36, v11, s0
	v_lshlrev_b64_e32 v[20:21], 2, v[21:22]
	v_add_nc_u32_e32 v22, 0x302, v3
	v_add_co_u32 v16, s0, v30, v16
	v_mov_b32_e32 v2, v24
	s_wait_alu 0xf1ff
	v_add_co_ci_u32_e64 v17, s0, v36, v17, s0
	v_mad_co_u64_u32 v[34:35], null, s8, v22, 0
	s_delay_alu instid0(VALU_DEP_3)
	v_mad_co_u64_u32 v[24:25], null, s9, v12, v[2:3]
	v_mov_b32_e32 v2, v33
	v_add_co_u32 v18, s0, v30, v18
	s_wait_alu 0xf1ff
	v_add_co_ci_u32_e64 v19, s0, v36, v19, s0
	v_mov_b32_e32 v12, v35
	v_add_co_u32 v20, s0, v30, v20
	v_mad_co_u64_u32 v[42:43], null, s8, v44, 0
	v_mad_co_u64_u32 v[25:26], null, s9, v26, v[2:3]
	s_delay_alu instid0(VALU_DEP_4)
	v_mad_co_u64_u32 v[27:28], null, s9, v22, v[12:13]
	s_wait_alu 0xf1ff
	v_add_co_ci_u32_e64 v21, s0, v36, v21, s0
	s_clause 0x7
	global_load_b32 v45, v[0:1], off
	global_load_b32 v39, v[4:5], off
	;; [unrolled: 1-line block ×8, first 2 shown]
	v_lshlrev_b64_e32 v[1:2], 2, v[23:24]
	v_dual_mov_b32 v0, v41 :: v_dual_mov_b32 v33, v25
	v_mov_b32_e32 v35, v27
	s_delay_alu instid0(VALU_DEP_2)
	v_mad_co_u64_u32 v[4:5], null, s9, v38, v[0:1]
	v_mov_b32_e32 v0, v43
	v_add_co_u32 v1, s0, v30, v1
	v_lshlrev_b64_e32 v[5:6], 2, v[32:33]
	s_wait_alu 0xf1ff
	v_add_co_ci_u32_e64 v2, s0, v36, v2, s0
	s_delay_alu instid0(VALU_DEP_3)
	v_mad_co_u64_u32 v[10:11], null, s9, v44, v[0:1]
	v_mov_b32_e32 v41, v4
	v_lshlrev_b64_e32 v[11:12], 2, v[34:35]
	v_add_co_u32 v4, s0, v30, v5
	s_wait_alu 0xf1ff
	v_add_co_ci_u32_e64 v5, s0, v36, v6, s0
	v_mov_b32_e32 v43, v10
	v_lshlrev_b64_e32 v[6:7], 2, v[40:41]
	v_add_co_u32 v10, s0, v30, v11
	s_wait_alu 0xf1ff
	v_add_co_ci_u32_e64 v11, s0, v36, v12, s0
	v_lshlrev_b64_e32 v[14:15], 2, v[42:43]
	s_delay_alu instid0(VALU_DEP_4) | instskip(SKIP_2) | instid1(VALU_DEP_3)
	v_add_co_u32 v6, s0, v30, v6
	s_wait_alu 0xf1ff
	v_add_co_ci_u32_e64 v7, s0, v36, v7, s0
	v_add_co_u32 v14, s0, v30, v14
	s_wait_alu 0xf1ff
	v_add_co_ci_u32_e64 v15, s0, v36, v15, s0
	s_clause 0x4
	global_load_b32 v40, v[1:2], off
	global_load_b32 v41, v[4:5], off
	global_load_b32 v42, v[10:11], off
	global_load_b32 v43, v[6:7], off
	global_load_b32 v44, v[14:15], off
	s_wait_loadcnt 0xc
	v_lshrrev_b32_e32 v16, 16, v45
	s_wait_loadcnt 0xb
	v_lshrrev_b32_e32 v24, 16, v39
	s_wait_loadcnt 0xa
	v_lshrrev_b32_e32 v23, 16, v37
	s_wait_loadcnt 0x9
	v_lshrrev_b32_e32 v22, 16, v31
	s_wait_loadcnt 0x8
	v_lshrrev_b32_e32 v21, 16, v29
	s_wait_loadcnt 0x7
	v_lshrrev_b32_e32 v20, 16, v28
	s_wait_loadcnt 0x6
	v_lshrrev_b32_e32 v19, 16, v26
	s_wait_loadcnt 0x5
	v_lshrrev_b32_e32 v18, 16, v46
	v_perm_b32 v38, v45, v46, 0x5040100
	s_wait_loadcnt 0x4
	v_lshrrev_b32_e32 v17, 16, v40
	s_wait_loadcnt 0x3
	v_lshrrev_b32_e32 v15, 16, v41
	;; [unrolled: 2-line block ×5, first 2 shown]
.LBB0_12:
	s_wait_alu 0xfffe
	s_or_b32 exec_lo, exec_lo, s2
	v_mov_b32_e32 v12, v3
.LBB0_13:
	s_wait_alu 0xfffe
	s_or_b32 exec_lo, exec_lo, s1
	v_sub_f16_e32 v56, v24, v7
	v_add_f16_e32 v34, v39, v44
	v_sub_f16_e32 v57, v23, v10
	v_add_f16_e32 v35, v37, v43
	v_sub_f16_e32 v54, v22, v11
	v_pk_mul_f16 v27, 0xbbf1b770, v56 op_sel_hi:[1,0]
	v_add_f16_e32 v49, v31, v42
	v_pk_mul_f16 v25, 0xb3a8ba95, v57 op_sel_hi:[1,0]
	v_sub_f16_e32 v51, v21, v15
	v_pk_mul_f16 v14, 0x3b7bbbf1, v54 op_sel_hi:[1,0]
	v_pk_fma_f16 v1, 0x2fb73b15, v34, v27 op_sel_hi:[1,0,1] neg_lo:[0,0,1] neg_hi:[0,0,1]
	v_and_b32_e32 v0, 1, v13
	v_pk_fma_f16 v2, 0xbbc4388b, v35, v25 op_sel_hi:[1,0,1] neg_lo:[0,0,1] neg_hi:[0,0,1]
	v_add_f16_e32 v48, v29, v41
	v_sub_f16_e32 v52, v20, v17
	v_pk_add_f16 v1, v38, v1 op_sel:[1,0]
	v_pk_mul_f16 v13, 0x3770bb7b, v51 op_sel_hi:[1,0]
	v_pk_fma_f16 v4, 0xb5ac2fb7, v49, v14 op_sel_hi:[1,0,1] neg_lo:[0,0,1] neg_hi:[0,0,1]
	v_add_f16_e32 v45, v28, v40
	v_pk_mul_f16 v46, 0xba95bb7b, v56 op_sel_hi:[1,0]
	v_pk_add_f16 v2, v2, v1
	v_pk_mul_f16 v1, 0xba95b94e, v52 op_sel_hi:[1,0]
	v_pk_fma_f16 v5, 0x3b15b5ac, v48, v13 op_sel_hi:[1,0,1] neg_lo:[0,0,1] neg_hi:[0,0,1]
	v_pk_mul_f16 v58, 0xb94eb3a8, v56 op_sel_hi:[1,0]
	v_pk_fma_f16 v30, 0x388bb5ac, v34, v46 op_sel_hi:[1,0,1] neg_lo:[0,0,1] neg_hi:[0,0,1]
	v_pk_add_f16 v4, v2, v4
	v_pk_fma_f16 v6, 0x388bb9fd, v45, v1 op_sel_hi:[1,0,1] neg_lo:[0,0,1] neg_hi:[0,0,1]
	v_pk_mul_f16 v50, 0xbb7b394e, v57 op_sel_hi:[1,0]
	v_pk_mul_f16 v59, 0x3bf13770, v57 op_sel_hi:[1,0]
	v_pk_add_f16 v30, v38, v30 op_sel:[1,0]
	v_pk_add_f16 v4, v5, v4
	v_pk_fma_f16 v5, 0xb9fdbbc4, v34, v58 op_sel_hi:[1,0,1] neg_lo:[0,0,1] neg_hi:[0,0,1]
	v_pk_mul_f16 v47, 0xb3a83770, v54 op_sel_hi:[1,0]
	v_pk_fma_f16 v32, 0x2fb73b15, v35, v59 op_sel_hi:[1,0,1] neg_lo:[0,0,1] neg_hi:[0,0,1]
	v_pk_mul_f16 v61, 0xba95b94e, v54 op_sel_hi:[1,0]
	v_pk_add_f16 v4, v6, v4
	v_pk_fma_f16 v6, 0xb5acb9fd, v35, v50 op_sel_hi:[1,0,1] neg_lo:[0,0,1] neg_hi:[0,0,1]
	v_pk_add_f16 v5, v38, v5 op_sel:[1,0]
	v_pk_mul_f16 v36, 0x394ebbf1, v51 op_sel_hi:[1,0]
	v_pk_fma_f16 v55, 0x388bb9fd, v49, v61 op_sel_hi:[1,0,1] neg_lo:[0,0,1] neg_hi:[0,0,1]
	v_pk_mul_f16 v60, 0x33a83a95, v51 op_sel_hi:[1,0]
	v_pk_add_f16 v6, v6, v30
	v_pk_fma_f16 v30, 0xbbc43b15, v49, v47 op_sel_hi:[1,0,1] neg_lo:[0,0,1] neg_hi:[0,0,1]
	v_pk_add_f16 v5, v32, v5
	v_sub_f16_e32 v53, v19, v18
	v_pk_mul_f16 v32, 0x3bf133a8, v52 op_sel_hi:[1,0]
	v_pk_mul_f16 v62, 0x3770bb7b, v52 op_sel_hi:[1,0]
	v_pk_add_f16 v6, v6, v30
	v_pk_fma_f16 v30, 0xb9fd2fb7, v48, v36 op_sel_hi:[1,0,1] neg_lo:[0,0,1] neg_hi:[0,0,1]
	v_pk_add_f16 v5, v5, v55
	v_pk_fma_f16 v55, 0xbbc4388b, v48, v60 op_sel_hi:[1,0,1] neg_lo:[0,0,1] neg_hi:[0,0,1]
	v_add_f16_e32 v33, v26, v38
	v_pk_mul_f16 v2, 0xb94eb3a8, v53 op_sel_hi:[1,0]
	v_pk_add_f16 v6, v30, v6
	v_pk_fma_f16 v63, 0x2fb7bbc4, v45, v32 op_sel_hi:[1,0,1] neg_lo:[0,0,1] neg_hi:[0,0,1]
	v_pk_mul_f16 v30, 0x37703a95, v53 op_sel_hi:[1,0]
	v_pk_add_f16 v5, v55, v5
	v_pk_fma_f16 v64, 0x3b15b5ac, v45, v62 op_sel_hi:[1,0,1] neg_lo:[0,0,1] neg_hi:[0,0,1]
	v_pk_mul_f16 v55, 0xbb7b3bf1, v53 op_sel_hi:[1,0]
	v_cmp_eq_u32_e64 s0, 1, v0
	v_pk_fma_f16 v65, 0xb9fdbbc4, v33, v2 op_sel_hi:[1,0,1] neg_lo:[0,0,1] neg_hi:[0,0,1]
	v_pk_add_f16 v6, v63, v6
	v_pk_fma_f16 v63, 0x3b15388b, v33, v30 op_sel_hi:[1,0,1] neg_lo:[0,0,1] neg_hi:[0,0,1]
	v_pk_add_f16 v64, v64, v5
	v_pk_fma_f16 v66, 0xb5ac2fb7, v33, v55 op_sel_hi:[1,0,1] neg_lo:[0,0,1] neg_hi:[0,0,1]
	s_wait_alu 0xf1ff
	v_cndmask_b32_e64 v67, 0, 0x3e9, s0
	v_pk_add_f16 v5, v65, v4
	v_pk_add_f16 v6, v63, v6
	v_cmp_gt_u32_e64 s1, 0x4d, v3
	v_pk_add_f16 v0, v66, v64
	v_lshlrev_b32_e32 v4, 1, v67
	s_delay_alu instid0(VALU_DEP_3)
	s_and_saveexec_b32 s0, s1
	s_cbranch_execz .LBB0_15
; %bb.14:
	v_lshrrev_b32_e32 v69, 16, v38
	v_pk_mul_f16 v76, 0xb9fdbbc4, v34 op_sel_hi:[1,0]
	v_pack_b32_f16 v63, v34, v34
	v_pk_mul_f16 v64, 0x2fb73b15, v34 op_sel_hi:[1,0]
	v_pk_mul_f16 v34, 0x388bb5ac, v34 op_sel_hi:[1,0]
	v_add_f16_e32 v73, v69, v39
	v_add_f16_e32 v58, v58, v76
	v_pk_mul_f16 v76, 0x2fb73b15, v35 op_sel_hi:[1,0]
	v_pack_b32_f16 v66, v35, v35
	v_pk_mul_f16 v67, 0xbbc4388b, v35 op_sel_hi:[1,0]
	v_add_f16_e32 v73, v73, v37
	v_add_f16_e32 v58, v69, v58
	;; [unrolled: 1-line block ×3, first 2 shown]
	v_pk_mul_f16 v69, 0x388bb9fd, v49 op_sel_hi:[1,0]
	v_pack_b32_f16 v71, v48, v48
	v_add_f16_e32 v73, v73, v31
	v_pk_mul_f16 v72, 0x3b15b5ac, v48 op_sel_hi:[1,0]
	v_pk_mul_f16 v35, 0xb5acb9fd, v35 op_sel_hi:[1,0]
	;; [unrolled: 1-line block ×3, first 2 shown]
	v_add_f16_e32 v58, v59, v58
	v_add_f16_e32 v73, v73, v29
	;; [unrolled: 1-line block ×3, first 2 shown]
	v_pk_mul_f16 v48, 0xbbc4388b, v48 op_sel_hi:[1,0]
	v_perm_b32 v34, v64, v34, 0x7060302
	v_perm_b32 v65, v38, v38, 0x7060302
	v_add_f16_e32 v73, v73, v28
	v_perm_b32 v69, v64, v26, 0x5040100
	v_add_f16_e32 v48, v60, v48
	v_pk_add_f16 v60, v25, v67
	v_perm_b32 v25, v25, v50, 0x7060302
	v_perm_b32 v61, v27, v73, 0x5040100
	;; [unrolled: 1-line block ×3, first 2 shown]
	v_pack_b32_f16 v56, v56, v56
	v_pack_b32_f16 v68, v49, v49
	v_pk_mul_f16 v70, 0xb5ac2fb7, v49 op_sel_hi:[1,0]
	v_pack_b32_f16 v74, v45, v45
	v_pk_add_f16 v27, v27, v34
	v_perm_b32 v34, v67, v35, 0x7060302
	v_pk_mul_f16 v75, 0x388bb9fd, v45 op_sel_hi:[1,0]
	v_pk_mul_f16 v49, 0xbbc43b15, v49 op_sel_hi:[1,0]
	;; [unrolled: 1-line block ×3, first 2 shown]
	v_add_f16_e32 v58, v58, v59
	v_pk_mul_f16 v45, 0x3b15b5ac, v45 op_sel_hi:[1,0]
	v_pk_add_f16 v59, v61, v69
	v_pk_add_f16 v27, v65, v27
	;; [unrolled: 1-line block ×3, first 2 shown]
	v_pk_mul_f16 v34, 0xb9fdb5ac, v63
	v_pack_b32_f16 v57, v57, v57
	v_add_f16_e32 v48, v48, v58
	v_add_f16_e32 v45, v62, v45
	v_pk_add_f16 v58, v59, v38
	v_perm_b32 v59, v60, v40, 0x5040100
	v_pk_add_f16 v60, v14, v70
	v_perm_b32 v14, v14, v47, 0x7060302
	v_perm_b32 v47, v70, v49, 0x7060302
	v_pk_add_f16 v25, v25, v27
	v_pk_fma_f16 v27, 0xb94ebb7b, v56, v34
	v_pk_mul_f16 v34, 0x2fb7b9fd, v66
	v_pack_b32_f16 v54, v54, v54
	v_add_f16_e32 v45, v45, v48
	v_pk_add_f16 v48, v13, v72
	v_pk_add_f16 v14, v14, v47
	v_perm_b32 v13, v13, v36, 0x7060302
	v_perm_b32 v36, v72, v76, 0x7060302
	v_pk_add_f16 v27, v65, v27
	v_pk_fma_f16 v34, 0x3bf1394e, v57, v34
	v_pk_mul_f16 v47, 0x388b3b15, v68
	v_pack_b32_f16 v51, v51, v51
	v_pack_b32_f16 v77, v33, v33
	v_pk_mul_f16 v78, 0xb9fdbbc4, v33 op_sel_hi:[1,0]
	v_pk_mul_f16 v61, 0x3b15388b, v33 op_sel_hi:[1,0]
	;; [unrolled: 1-line block ×3, first 2 shown]
	v_pk_add_f16 v58, v58, v59
	v_perm_b32 v59, v60, v41, 0x5040100
	v_pk_add_f16 v14, v25, v14
	v_pk_add_f16 v13, v13, v36
	;; [unrolled: 1-line block ×3, first 2 shown]
	v_pk_fma_f16 v27, 0xba953770, v54, v47
	v_pk_mul_f16 v34, 0xbbc42fb7, v71
	v_pack_b32_f16 v52, v52, v52
	v_add_f16_e32 v33, v55, v33
	v_pk_add_f16 v46, v1, v75
	v_pk_add_f16 v55, v58, v59
	v_perm_b32 v48, v48, v42, 0x5040100
	v_perm_b32 v1, v1, v32, 0x7060302
	;; [unrolled: 1-line block ×3, first 2 shown]
	v_pk_add_f16 v13, v13, v14
	v_pk_add_f16 v14, v25, v27
	v_pk_fma_f16 v25, 0x33a8bbf1, v51, v34
	v_pk_mul_f16 v27, 0x3b15bbc4, v74
	v_pack_b32_f16 v53, v53, v53
	v_pk_add_f16 v35, v2, v78
	v_pk_add_f16 v48, v55, v48
	v_perm_b32 v46, v46, v43, 0x5040100
	v_pk_add_f16 v1, v1, v32
	v_perm_b32 v2, v2, v30, 0x7060302
	v_perm_b32 v30, v78, v61, 0x7060302
	v_pk_add_f16 v14, v25, v14
	v_pk_fma_f16 v25, 0x377033a8, v52, v27
	v_pk_mul_f16 v27, 0xb5ac388b, v77
	v_mul_u32_u24_e32 v50, 26, v3
	v_pk_add_f16 v46, v46, v48
	v_perm_b32 v32, v35, v44, 0x5040100
	v_pk_add_f16 v1, v1, v13
	v_pk_add_f16 v2, v2, v30
	;; [unrolled: 1-line block ×3, first 2 shown]
	v_pk_fma_f16 v14, 0xbb7b3a95, v53, v27
	v_add_f16_e32 v25, v33, v45
	v_add3_u32 v27, 0, v50, v4
	v_pk_add_f16 v32, v32, v46
	v_pk_add_f16 v33, v2, v1
	;; [unrolled: 1-line block ×3, first 2 shown]
	v_bfi_b32 v1, 0xffff, v6, v5
	v_alignbit_b32 v2, v5, v6, 16
	ds_store_b96 v27, v[32:34]
	ds_store_b16 v27, v25 offset:12
	ds_store_b96 v27, v[0:2] offset:14
.LBB0_15:
	s_wait_alu 0xfffe
	s_or_b32 exec_lo, exec_lo, s0
	v_lshlrev_b32_e32 v2, 1, v3
	global_wb scope:SCOPE_SE
	s_wait_dscnt 0x0
	s_barrier_signal -1
	s_barrier_wait -1
	global_inv scope:SCOPE_SE
	v_add_nc_u32_e32 v1, 0, v2
	v_add3_u32 v14, 0, v4, v2
	v_cmp_gt_u32_e64 s0, 52, v3
                                        ; implicit-def: $vgpr27
	s_delay_alu instid0(VALU_DEP_3)
	v_add_nc_u32_e32 v13, v1, v4
	ds_load_u16 v25, v14
	ds_load_u16 v36, v13 offset:286
	ds_load_u16 v35, v13 offset:572
	;; [unrolled: 1-line block ×6, first 2 shown]
	s_and_saveexec_b32 s2, s0
	s_cbranch_execz .LBB0_17
; %bb.16:
	ds_load_u16 v0, v13 offset:182
	ds_load_u16 v5, v13 offset:1612
	;; [unrolled: 1-line block ×3, first 2 shown]
	s_wait_dscnt 0x2
	ds_load_u16_d16_hi v0, v13 offset:468
	s_wait_dscnt 0x2
	ds_load_u16_d16_hi v5, v13 offset:1040
	;; [unrolled: 2-line block ×3, first 2 shown]
	ds_load_u16 v27, v13 offset:1898
.LBB0_17:
	s_wait_alu 0xfffe
	s_or_b32 exec_lo, exec_lo, s2
	v_sub_f16_e32 v60, v39, v44
	v_add_f16_e32 v39, v24, v7
	v_sub_f16_e32 v59, v37, v43
	v_add_f16_e32 v44, v23, v10
	v_sub_f16_e32 v62, v31, v42
	v_pk_mul_f16 v49, 0xb770ba95, v60 op_sel_hi:[1,0]
	v_add_f16_e32 v37, v22, v11
	v_pk_mul_f16 v56, 0xba95bb7b, v59 op_sel_hi:[1,0]
	v_sub_f16_e32 v61, v29, v41
	v_sub_f16_e32 v63, v28, v40
	v_pk_fma_f16 v2, 0x3b15388b, v39, v49 op_sel_hi:[1,0,1]
	v_pk_mul_f16 v50, 0xbbf1b3a8, v62 op_sel_hi:[1,0]
	v_pk_fma_f16 v28, 0x388bb5ac, v44, v56 op_sel_hi:[1,0,1]
	v_add_f16_e32 v42, v21, v15
	v_sub_f16_e32 v64, v26, v38
	v_pk_add_f16 v2, v16, v2 op_sel_hi:[0,1]
	v_pk_mul_f16 v53, 0xbb7b394e, v61 op_sel_hi:[1,0]
	v_pk_fma_f16 v26, 0x2fb7bbc4, v37, v50 op_sel_hi:[1,0,1]
	v_add_f16_e32 v41, v20, v17
	v_pk_mul_f16 v51, 0xb94e3bf1, v63 op_sel_hi:[1,0]
	v_pk_add_f16 v2, v28, v2
	v_pk_mul_f16 v38, 0xb94ebbf1, v60 op_sel_hi:[1,0]
	v_pk_fma_f16 v28, 0xb5acb9fd, v42, v53 op_sel_hi:[1,0,1]
	v_pk_mul_f16 v58, 0xbb7bb3a8, v60 op_sel_hi:[1,0]
	v_pk_mul_f16 v31, 0x3bf1b3a8, v59 op_sel_hi:[1,0]
	v_pk_add_f16 v2, v2, v26
	v_pk_fma_f16 v26, 0xb9fd2fb7, v41, v51 op_sel_hi:[1,0,1]
	v_pk_fma_f16 v43, 0xb9fd2fb7, v39, v38 op_sel_hi:[1,0,1]
	v_pk_mul_f16 v54, 0x394e3770, v59 op_sel_hi:[1,0]
	v_pk_fma_f16 v45, 0x2fb7bbc4, v44, v31 op_sel_hi:[1,0,1]
	v_pk_add_f16 v2, v28, v2
	v_pk_fma_f16 v28, 0xb5acbbc4, v39, v58 op_sel_hi:[1,0,1]
	v_pk_add_f16 v43, v16, v43 op_sel_hi:[0,1]
	v_pk_mul_f16 v47, 0xba953b7b, v62 op_sel_hi:[1,0]
	v_pk_mul_f16 v57, 0x3770b94e, v62 op_sel_hi:[1,0]
	v_pk_add_f16 v2, v26, v2
	v_pk_add_f16 v26, v16, v28 op_sel_hi:[0,1]
	v_pk_fma_f16 v28, 0xb9fd3b15, v44, v54 op_sel_hi:[1,0,1]
	v_pk_add_f16 v43, v45, v43
	v_pk_fma_f16 v45, 0x388bb5ac, v37, v47 op_sel_hi:[1,0,1]
	v_pk_mul_f16 v46, 0x33a83770, v61 op_sel_hi:[1,0]
	v_pk_mul_f16 v55, 0xbbf13a95, v61 op_sel_hi:[1,0]
	v_pk_add_f16 v26, v28, v26
	v_pk_fma_f16 v28, 0x3b15b9fd, v37, v57 op_sel_hi:[1,0,1]
	v_pk_add_f16 v43, v43, v45
	v_pk_fma_f16 v48, 0xbbc43b15, v42, v46 op_sel_hi:[1,0,1]
	v_pk_mul_f16 v45, 0x3770ba95, v63 op_sel_hi:[1,0]
	v_pk_mul_f16 v52, 0x33a8bb7b, v63 op_sel_hi:[1,0]
	v_pk_add_f16 v26, v26, v28
	v_pk_fma_f16 v28, 0x2fb7388b, v42, v55 op_sel_hi:[1,0,1]
	v_add_f16_e32 v40, v19, v18
	v_pk_mul_f16 v29, 0xb3a83770, v64 op_sel_hi:[1,0]
	v_pk_add_f16 v65, v48, v43
	v_pk_fma_f16 v66, 0x3b15388b, v41, v45 op_sel_hi:[1,0,1]
	v_pk_mul_f16 v43, 0xbb7bb94e, v64 op_sel_hi:[1,0]
	v_pk_add_f16 v26, v28, v26
	v_pk_fma_f16 v28, 0xbbc4b5ac, v41, v52 op_sel_hi:[1,0,1]
	v_pk_mul_f16 v48, 0x3a953bf1, v64 op_sel_hi:[1,0]
	v_pk_fma_f16 v67, 0xbbc43b15, v40, v29 op_sel_hi:[1,0,1]
	v_pk_add_f16 v65, v66, v65
	v_pk_fma_f16 v66, 0xb5acb9fd, v40, v43 op_sel_hi:[1,0,1]
	v_pk_add_f16 v26, v28, v26
	;; [unrolled: 2-line block ×3, first 2 shown]
	global_wb scope:SCOPE_SE
	s_wait_dscnt 0x0
	v_pk_add_f16 v28, v66, v65
	s_barrier_signal -1
	v_pk_add_f16 v26, v68, v26
	s_barrier_wait -1
	global_inv scope:SCOPE_SE
	s_and_saveexec_b32 s2, s1
	s_cbranch_execz .LBB0_19
; %bb.18:
	v_add_f16_e32 v24, v16, v24
	v_pk_mul_f16 v66, 0x3b15388b, v39 op_sel_hi:[1,0]
	v_perm_b32 v16, v16, v16, 0x5040100
	v_pk_mul_f16 v67, 0x388bb5ac, v44 op_sel_hi:[1,0]
	v_pk_mul_f16 v70, 0xb5acb9fd, v42 op_sel_hi:[1,0]
	v_add_f16_e32 v23, v24, v23
	v_pack_b32_f16 v60, v60, v60
	v_pk_mul_f16 v71, 0xb9fd2fb7, v41 op_sel_hi:[1,0]
	v_pk_add_f16 v56, v67, v56 neg_lo:[0,1] neg_hi:[0,1]
	v_pk_mul_f16 v73, 0xb9fd2fb7, v39 op_sel_hi:[1,0]
	v_add_f16_e32 v22, v23, v22
	v_pk_mul_f16 v23, 0x2fb7bbc4, v37 op_sel_hi:[1,0]
	v_pack_b32_f16 v65, v39, v39
	v_alignbit_b32 v38, v58, v38, 16
	v_pack_b32_f16 v59, v59, v59
	v_add_f16_e32 v21, v22, v21
	v_pack_b32_f16 v68, v37, v37
	v_alignbit_b32 v31, v54, v31, 16
	v_pack_b32_f16 v24, v44, v44
	v_pack_b32_f16 v62, v62, v62
	v_add_f16_e32 v20, v21, v20
	v_pack_b32_f16 v22, v61, v61
	v_pack_b32_f16 v61, v41, v41
	v_pk_mul_f16 v67, 0x3b15388b, v41 op_sel_hi:[1,0]
	v_pk_mul_f16 v41, 0xbbc4b5ac, v41 op_sel_hi:[1,0]
	v_add_f16_e32 v19, v20, v19
	v_pk_add_f16 v20, v66, v49 neg_lo:[0,1] neg_hi:[0,1]
	v_pk_mul_f16 v49, 0x2fb7bbc4, v44 op_sel_hi:[1,0]
	v_pk_mul_f16 v66, 0x388bb5ac, v37 op_sel_hi:[1,0]
	;; [unrolled: 1-line block ×3, first 2 shown]
	v_add_f16_e32 v18, v19, v18
	v_pk_add_f16 v19, v16, v20
	v_pk_mul_f16 v20, 0xbbc43b15, v42 op_sel_hi:[1,0]
	v_pack_b32_f16 v69, v42, v42
	v_pack_b32_f16 v63, v63, v63
	v_add_f16_e32 v17, v18, v17
	v_pk_add_f16 v18, v56, v19
	v_pk_add_f16 v19, v23, v50 neg_lo:[0,1] neg_hi:[0,1]
	v_pk_mul_f16 v23, 0xb5acbbc4, v39 op_sel_hi:[1,0]
	v_pk_mul_f16 v39, 0xb9fd3b15, v44 op_sel_hi:[1,0]
	v_add_f16_e32 v15, v17, v15
	v_pk_mul_f16 v22, 0x3bf1b770, v22
	v_pk_add_f16 v17, v18, v19
	v_pk_add_f16 v18, v70, v53 neg_lo:[0,1] neg_hi:[0,1]
	v_alignbit_b32 v23, v23, v73, 16
	v_add_f16_e32 v11, v15, v11
	v_pk_mul_f16 v19, 0x2fb7388b, v42 op_sel_hi:[1,0]
	v_pack_b32_f16 v21, v40, v40
	v_pk_add_f16 v15, v18, v17
	v_pk_add_f16 v17, v71, v51 neg_lo:[0,1] neg_hi:[0,1]
	v_pk_mul_f16 v18, 0x3b7b3bf1, v60
	v_add_f16_e32 v10, v10, v11
	v_alignbit_b32 v19, v19, v20, 16
	v_alignbit_b32 v20, v55, v46, 16
	v_pk_add_f16 v11, v17, v15
	v_pk_fma_f16 v15, 0xb5ac2fb7, v65, v18
	v_pk_add_f16 v18, v23, v38 neg_lo:[0,1] neg_hi:[0,1]
	v_alignbit_b32 v23, v39, v49, 16
	v_pk_mul_f16 v17, 0xb94e33a8, v59
	v_pk_mul_f16 v72, 0xbbc43b15, v40 op_sel_hi:[1,0]
	v_pk_add_f16 v15, v16, v15
	v_pk_add_f16 v16, v16, v18
	v_pk_add_f16 v18, v23, v31 neg_lo:[0,1] neg_hi:[0,1]
	v_alignbit_b32 v23, v37, v66, 16
	v_alignbit_b32 v31, v57, v47, 16
	v_pk_fma_f16 v17, 0xb9fdbbc4, v24, v17
	v_pk_mul_f16 v24, 0xb770bb7b, v62
	v_pk_add_f16 v16, v18, v16
	v_pk_mul_f16 v74, 0xb5acb9fd, v40 op_sel_hi:[1,0]
	v_pk_add_f16 v18, v23, v31 neg_lo:[0,1] neg_hi:[0,1]
	v_pk_add_f16 v15, v17, v15
	v_pk_fma_f16 v17, 0x3b15b5ac, v68, v24
	v_pk_mul_f16 v40, 0x388b2fb7, v40 op_sel_hi:[1,0]
	v_pack_b32_f16 v64, v64, v64
	v_pk_add_f16 v16, v16, v18
	v_pk_add_f16 v18, v19, v20 neg_lo:[0,1] neg_hi:[0,1]
	v_alignbit_b32 v19, v41, v67, 16
	v_alignbit_b32 v20, v52, v45, 16
	v_pk_add_f16 v15, v15, v17
	v_pk_fma_f16 v17, 0x2fb73b15, v69, v22
	v_pk_mul_f16 v22, 0xb3a83a95, v63
	v_pk_add_f16 v16, v18, v16
	v_pk_add_f16 v18, v19, v20 neg_lo:[0,1] neg_hi:[0,1]
	v_alignbit_b32 v19, v40, v74, 16
	v_alignbit_b32 v20, v48, v43, 16
	v_pk_add_f16 v15, v17, v15
	v_pk_fma_f16 v17, 0xbbc4388b, v61, v22
	v_pk_mul_f16 v22, 0xba95394e, v64
	v_pk_add_f16 v23, v72, v29 neg_lo:[0,1] neg_hi:[0,1]
	v_pk_add_f16 v19, v19, v20 neg_lo:[0,1] neg_hi:[0,1]
	v_mul_u32_u24_e32 v20, 24, v3
	v_pk_add_f16 v15, v17, v15
	v_pk_fma_f16 v17, 0x388bb9fd, v21, v22
	v_pk_add_f16 v18, v18, v16
	v_pk_add_f16 v11, v23, v11
	v_add_f16_e32 v7, v7, v10
	v_add3_u32 v10, v1, v20, v4
	v_pk_add_f16 v16, v17, v15
	v_pk_add_f16 v17, v19, v18
	v_alignbit_b32 v15, v11, v11, 16
	v_bfi_b32 v18, 0xffff, v26, v28
	v_alignbit_b32 v1, v28, v26, 16
	ds_store_b16 v10, v7
	ds_store_b128 v10, v[15:18] offset:2
	ds_store_b64 v10, v[1:2] offset:18
.LBB0_19:
	s_wait_alu 0xfffe
	s_or_b32 exec_lo, exec_lo, s2
	global_wb scope:SCOPE_SE
	s_wait_dscnt 0x0
	s_barrier_signal -1
	s_barrier_wait -1
	global_inv scope:SCOPE_SE
	ds_load_u16 v1, v14
	ds_load_u16 v20, v13 offset:286
	ds_load_u16 v19, v13 offset:572
	;; [unrolled: 1-line block ×6, first 2 shown]
                                        ; implicit-def: $vgpr11
	s_and_saveexec_b32 s1, s0
	s_cbranch_execz .LBB0_21
; %bb.20:
	ds_load_u16 v28, v13 offset:1040
	ds_load_u16 v26, v13 offset:182
	;; [unrolled: 1-line block ×4, first 2 shown]
	s_wait_dscnt 0x3
	ds_load_u16_d16_hi v28, v13 offset:468
	s_wait_dscnt 0x3
	ds_load_u16_d16_hi v26, v13 offset:754
	;; [unrolled: 2-line block ×3, first 2 shown]
.LBB0_21:
	s_wait_alu 0xfffe
	s_or_b32 exec_lo, exec_lo, s1
	v_and_b32_e32 v7, 0xff, v3
	v_add_nc_u16 v10, v3, 0x5b
	s_wait_dscnt 0x2
	v_lshrrev_b32_e32 v52, 16, v28
	s_wait_dscnt 0x1
	v_lshrrev_b32_e32 v53, 16, v26
	v_lshrrev_b32_e32 v54, 16, v5
	v_mul_lo_u16 v7, 0x4f, v7
	v_and_b32_e32 v22, 0xff, v10
	v_lshrrev_b32_e32 v37, 16, v0
	v_lshrrev_b32_e32 v55, 16, v6
	s_wait_dscnt 0x0
	v_lshrrev_b32_e32 v56, 16, v2
	v_lshrrev_b16 v7, 10, v7
	v_mul_lo_u16 v22, 0x4f, v22
	s_delay_alu instid0(VALU_DEP_2) | instskip(NEXT) | instid1(VALU_DEP_2)
	v_mul_lo_u16 v21, v7, 13
	v_lshrrev_b16 v22, 10, v22
	v_and_b32_e32 v7, 0xffff, v7
	s_delay_alu instid0(VALU_DEP_3) | instskip(NEXT) | instid1(VALU_DEP_3)
	v_sub_nc_u16 v21, v3, v21
	v_mul_lo_u16 v24, v22, 13
	s_delay_alu instid0(VALU_DEP_3) | instskip(NEXT) | instid1(VALU_DEP_3)
	v_mad_u32_u24 v7, 0xb6, v7, 0
	v_and_b32_e32 v21, 0xff, v21
	s_delay_alu instid0(VALU_DEP_3) | instskip(NEXT) | instid1(VALU_DEP_2)
	v_sub_nc_u16 v10, v10, v24
	v_mul_u32_u24_e32 v23, 6, v21
	s_delay_alu instid0(VALU_DEP_2) | instskip(SKIP_1) | instid1(VALU_DEP_3)
	v_and_b32_e32 v24, 0xff, v10
	v_lshlrev_b32_e32 v21, 1, v21
	v_lshlrev_b32_e32 v23, 2, v23
	s_delay_alu instid0(VALU_DEP_3) | instskip(NEXT) | instid1(VALU_DEP_3)
	v_mul_u32_u24_e32 v10, 6, v24
	v_add3_u32 v29, v7, v21, v4
	v_lshlrev_b32_e32 v7, 1, v24
	s_clause 0x1
	global_load_b128 v[40:43], v23, s[4:5]
	global_load_b64 v[48:49], v23, s[4:5] offset:16
	v_lshlrev_b32_e32 v10, 2, v10
	s_clause 0x1
	global_load_b128 v[44:47], v10, s[4:5]
	global_load_b64 v[50:51], v10, s[4:5] offset:16
	v_and_b32_e32 v10, 0xffff, v22
	global_wb scope:SCOPE_SE
	s_wait_loadcnt 0x0
	s_barrier_signal -1
	s_barrier_wait -1
	global_inv scope:SCOPE_SE
	v_lshrrev_b32_e32 v21, 16, v40
	v_lshrrev_b32_e32 v23, 16, v41
	;; [unrolled: 1-line block ×6, first 2 shown]
	v_mul_f16_e32 v22, v20, v21
	v_mul_f16_e32 v58, v36, v21
	;; [unrolled: 1-line block ×11, first 2 shown]
	v_lshrrev_b32_e32 v62, 16, v44
	v_lshrrev_b32_e32 v63, 16, v45
	;; [unrolled: 1-line block ×3, first 2 shown]
	v_mul_f16_e32 v57, v30, v57
	v_lshrrev_b32_e32 v65, 16, v47
	v_lshrrev_b32_e32 v66, 16, v50
	v_fmac_f16_e32 v22, v36, v40
	v_fma_f16 v20, v20, v40, -v58
	v_fmac_f16_e32 v21, v35, v41
	v_fma_f16 v19, v19, v41, -v59
	v_fma_f16 v17, v17, v43, -v31
	v_fmac_f16_e32 v38, v32, v48
	v_fmac_f16_e32 v39, v30, v49
	v_mul_f16_e32 v31, v52, v62
	v_mul_f16_e32 v30, v53, v63
	;; [unrolled: 1-line block ×4, first 2 shown]
	v_fmac_f16_e32 v23, v34, v42
	v_fma_f16 v18, v18, v42, -v60
	v_fmac_f16_e32 v24, v33, v43
	v_fma_f16 v16, v16, v48, -v61
	v_mul_f16_e32 v36, v37, v62
	v_mul_f16_e32 v32, v28, v64
	;; [unrolled: 1-line block ×5, first 2 shown]
	v_fmac_f16_e32 v31, v37, v44
	v_fmac_f16_e32 v30, v6, v45
	v_fma_f16 v37, v53, v45, -v40
	v_fma_f16 v6, v28, v46, -v41
	v_add_f16_e32 v28, v22, v39
	v_add_f16_e32 v40, v21, v38
	v_fma_f16 v15, v15, v49, -v57
	v_mul_f16_e32 v33, v2, v65
	v_fma_f16 v36, v52, v44, -v36
	v_fma_f16 v2, v2, v47, -v42
	v_fmac_f16_e32 v34, v5, v50
	v_fma_f16 v5, v56, v50, -v43
	v_add_f16_e32 v42, v23, v24
	v_sub_f16_e32 v43, v19, v16
	v_sub_f16_e32 v44, v17, v18
	v_add_f16_e32 v45, v40, v28
	v_sub_f16_e32 v41, v20, v15
	v_fmac_f16_e32 v32, v54, v46
	v_fmac_f16_e32 v33, v55, v47
	v_sub_f16_e32 v46, v40, v28
	v_sub_f16_e32 v28, v28, v42
	;; [unrolled: 1-line block ×3, first 2 shown]
	v_add_f16_e32 v47, v44, v43
	v_sub_f16_e32 v49, v44, v43
	v_add_f16_e32 v42, v42, v45
	v_sub_f16_e32 v43, v43, v41
	v_sub_f16_e32 v44, v41, v44
	v_add_f16_e32 v41, v47, v41
	v_mul_f16_e32 v28, 0x3a52, v28
	v_mul_f16_e32 v47, 0x3846, v49
	v_add_f16_e32 v25, v25, v42
	v_mul_f16_e32 v49, 0xbb00, v43
	v_mul_f16_e32 v45, 0x2b26, v40
	v_lshrrev_b32_e32 v67, 16, v51
	v_fmamk_f16 v40, v40, 0x2b26, v28
	v_fmamk_f16 v50, v44, 0xb574, v47
	;; [unrolled: 1-line block ×3, first 2 shown]
	v_fma_f16 v44, v44, 0x3574, -v49
	v_fma_f16 v28, v46, 0xb9e0, -v28
	;; [unrolled: 1-line block ×4, first 2 shown]
	v_mul_f16_e32 v35, v11, v67
	v_mul_f16_e32 v48, v27, v67
	v_fmac_f16_e32 v50, 0xb70e, v41
	v_add_f16_e32 v40, v40, v42
	v_fmac_f16_e32 v44, 0xb70e, v41
	v_add_f16_e32 v28, v28, v42
	;; [unrolled: 2-line block ×3, first 2 shown]
	v_fmac_f16_e32 v35, v27, v51
	v_fma_f16 v11, v11, v51, -v48
	v_add_f16_e32 v27, v50, v40
	v_add_f16_e32 v42, v44, v28
	v_sub_f16_e32 v45, v41, v43
	v_add_f16_e32 v41, v43, v41
	v_sub_f16_e32 v28, v28, v44
	v_sub_f16_e32 v40, v40, v50
	ds_store_b16 v29, v25
	ds_store_b16 v29, v27 offset:26
	ds_store_b16 v29, v42 offset:52
	;; [unrolled: 1-line block ×6, first 2 shown]
	s_and_saveexec_b32 s1, s0
	s_cbranch_execz .LBB0_23
; %bb.22:
	v_add_f16_e32 v25, v31, v35
	v_add_f16_e32 v27, v30, v34
	;; [unrolled: 1-line block ×3, first 2 shown]
	v_sub_f16_e32 v41, v2, v6
	v_sub_f16_e32 v43, v37, v5
	;; [unrolled: 1-line block ×3, first 2 shown]
	v_add_f16_e32 v42, v27, v25
	v_sub_f16_e32 v44, v25, v28
	v_sub_f16_e32 v45, v28, v27
	;; [unrolled: 1-line block ×4, first 2 shown]
	v_add_f16_e32 v28, v28, v42
	v_sub_f16_e32 v42, v41, v43
	v_add_f16_e32 v41, v41, v43
	v_sub_f16_e32 v43, v43, v40
	v_mul_f16_e32 v27, 0x3a52, v44
	v_add_f16_e32 v0, v0, v28
	v_mul_f16_e32 v42, 0x3846, v42
	v_add_f16_e32 v40, v41, v40
	v_mul_f16_e32 v44, 0xbb00, v43
	v_fmamk_f16 v41, v45, 0x2b26, v27
	v_mul_f16_e32 v45, 0x2b26, v45
	v_fmamk_f16 v28, v28, 0xbcab, v0
	v_fmamk_f16 v47, v46, 0xb574, v42
	v_fma_f16 v27, v25, 0xb9e0, -v27
	v_fma_f16 v44, v46, 0x3574, -v44
	;; [unrolled: 1-line block ×4, first 2 shown]
	v_mad_u32_u24 v43, 0xb6, v10, 0
	v_add_f16_e32 v41, v41, v28
	v_fmac_f16_e32 v47, 0xb70e, v40
	v_add_f16_e32 v27, v27, v28
	v_fmac_f16_e32 v44, 0xb70e, v40
	v_fmac_f16_e32 v42, 0xb70e, v40
	v_add_f16_e32 v25, v25, v28
	v_add3_u32 v40, v43, v7, v4
	v_sub_f16_e32 v45, v41, v47
	v_add_f16_e32 v41, v47, v41
	v_sub_f16_e32 v28, v27, v44
	v_add_f16_e32 v27, v44, v27
	;; [unrolled: 2-line block ×3, first 2 shown]
	ds_store_b16 v40, v0
	ds_store_b16 v40, v41 offset:26
	ds_store_b16 v40, v27 offset:52
	;; [unrolled: 1-line block ×6, first 2 shown]
.LBB0_23:
	s_wait_alu 0xfffe
	s_or_b32 exec_lo, exec_lo, s1
	v_add_f16_e32 v0, v20, v15
	v_add_f16_e32 v15, v19, v16
	v_sub_f16_e32 v16, v22, v39
	v_add_f16_e32 v17, v18, v17
	v_sub_f16_e32 v18, v21, v38
	v_sub_f16_e32 v19, v24, v23
	v_add_f16_e32 v20, v15, v0
	v_sub_f16_e32 v21, v15, v0
	v_sub_f16_e32 v0, v0, v17
	;; [unrolled: 1-line block ×3, first 2 shown]
	v_add_f16_e32 v22, v19, v18
	v_add_f16_e32 v17, v17, v20
	v_sub_f16_e32 v20, v19, v18
	v_sub_f16_e32 v18, v18, v16
	;; [unrolled: 1-line block ×3, first 2 shown]
	v_add_f16_e32 v16, v22, v16
	v_add_f16_e32 v1, v1, v17
	v_mul_f16_e32 v0, 0x3a52, v0
	v_mul_f16_e32 v22, 0x2b26, v15
	;; [unrolled: 1-line block ×4, first 2 shown]
	v_fmamk_f16 v17, v17, 0xbcab, v1
	v_fmamk_f16 v15, v15, 0x2b26, v0
	v_fma_f16 v22, v21, 0x39e0, -v22
	v_fma_f16 v0, v21, 0xb9e0, -v0
	v_fmamk_f16 v27, v19, 0xb574, v20
	v_fma_f16 v28, v18, 0xbb00, -v20
	v_fma_f16 v38, v19, 0x3574, -v23
	v_add_f16_e32 v39, v15, v17
	v_add_f16_e32 v40, v22, v17
	;; [unrolled: 1-line block ×3, first 2 shown]
	v_fmac_f16_e32 v27, 0xb70e, v16
	v_fmac_f16_e32 v28, 0xb70e, v16
	;; [unrolled: 1-line block ×3, first 2 shown]
	global_wb scope:SCOPE_SE
	s_wait_dscnt 0x0
	s_barrier_signal -1
	s_barrier_wait -1
	global_inv scope:SCOPE_SE
	ds_load_u16 v15, v14
	ds_load_u16 v22, v13 offset:182
	ds_load_u16 v21, v13 offset:364
	;; [unrolled: 1-line block ×10, first 2 shown]
	v_sub_f16_e32 v41, v39, v27
	v_sub_f16_e32 v42, v0, v38
	v_add_f16_e32 v43, v28, v40
	v_sub_f16_e32 v28, v40, v28
	v_add_f16_e32 v0, v38, v0
	v_add_f16_e32 v27, v27, v39
	global_wb scope:SCOPE_SE
	s_wait_dscnt 0x0
	s_barrier_signal -1
	s_barrier_wait -1
	global_inv scope:SCOPE_SE
	ds_store_b16 v29, v1
	ds_store_b16 v29, v41 offset:26
	ds_store_b16 v29, v42 offset:52
	;; [unrolled: 1-line block ×6, first 2 shown]
	s_and_saveexec_b32 s1, s0
	s_cbranch_execz .LBB0_25
; %bb.24:
	v_add_f16_e32 v0, v36, v11
	v_add_f16_e32 v1, v37, v5
	;; [unrolled: 1-line block ×3, first 2 shown]
	v_sub_f16_e32 v6, v30, v34
	v_sub_f16_e32 v11, v33, v32
	;; [unrolled: 1-line block ×3, first 2 shown]
	v_add_f16_e32 v27, v1, v0
	v_sub_f16_e32 v28, v1, v0
	v_sub_f16_e32 v0, v0, v2
	;; [unrolled: 1-line block ×3, first 2 shown]
	v_add_f16_e32 v29, v11, v6
	v_add_f16_e32 v2, v2, v27
	v_sub_f16_e32 v27, v11, v6
	v_sub_f16_e32 v6, v6, v5
	;; [unrolled: 1-line block ×3, first 2 shown]
	v_add_f16_e32 v5, v29, v5
	v_add_f16_e32 v26, v26, v2
	v_mul_f16_e32 v0, 0x3a52, v0
	v_mul_f16_e32 v29, 0x2b26, v1
	;; [unrolled: 1-line block ×4, first 2 shown]
	v_fmamk_f16 v2, v2, 0xbcab, v26
	v_fmamk_f16 v1, v1, 0x2b26, v0
	v_fma_f16 v29, v28, 0x39e0, -v29
	v_fma_f16 v0, v28, 0xb9e0, -v0
	v_fmamk_f16 v28, v11, 0xb574, v27
	v_fma_f16 v11, v11, 0x3574, -v30
	v_fma_f16 v6, v6, 0xbb00, -v27
	v_add_f16_e32 v1, v1, v2
	v_add_f16_e32 v27, v29, v2
	;; [unrolled: 1-line block ×3, first 2 shown]
	v_mad_u32_u24 v2, 0xb6, v10, 0
	v_fmac_f16_e32 v28, 0xb70e, v5
	v_fmac_f16_e32 v11, 0xb70e, v5
	;; [unrolled: 1-line block ×3, first 2 shown]
	s_delay_alu instid0(VALU_DEP_4) | instskip(NEXT) | instid1(VALU_DEP_4)
	v_add3_u32 v2, v2, v7, v4
	v_sub_f16_e32 v5, v1, v28
	s_delay_alu instid0(VALU_DEP_4) | instskip(NEXT) | instid1(VALU_DEP_4)
	v_sub_f16_e32 v10, v0, v11
	v_add_f16_e32 v4, v6, v27
	v_sub_f16_e32 v6, v27, v6
	v_add_f16_e32 v0, v11, v0
	v_add_f16_e32 v1, v28, v1
	ds_store_b16 v2, v26
	ds_store_b16 v2, v5 offset:26
	ds_store_b16 v2, v10 offset:52
	;; [unrolled: 1-line block ×6, first 2 shown]
.LBB0_25:
	s_wait_alu 0xfffe
	s_or_b32 exec_lo, exec_lo, s1
	global_wb scope:SCOPE_SE
	s_wait_dscnt 0x0
	s_barrier_signal -1
	s_barrier_wait -1
	global_inv scope:SCOPE_SE
	s_and_saveexec_b32 s0, vcc_lo
	s_cbranch_execz .LBB0_27
; %bb.26:
	v_mul_u32_u24_e32 v0, 10, v3
	v_mad_co_u64_u32 v[33:34], null, s8, v12, 0
	v_add_nc_u32_e32 v44, 0x5b, v12
	v_lshlrev_b64_e32 v[8:9], 2, v[8:9]
	s_delay_alu instid0(VALU_DEP_4)
	v_lshlrev_b32_e32 v4, 2, v0
	s_clause 0x2
	global_load_b128 v[0:3], v4, s[4:5] offset:312
	global_load_b64 v[10:11], v4, s[4:5] offset:344
	global_load_b128 v[4:7], v4, s[4:5] offset:328
	ds_load_u16 v26, v13 offset:546
	ds_load_u16 v27, v13 offset:728
	;; [unrolled: 1-line block ×7, first 2 shown]
	ds_load_u16 v14, v14
	ds_load_u16 v48, v13 offset:1820
	ds_load_u16 v49, v13 offset:1638
	;; [unrolled: 1-line block ×3, first 2 shown]
	v_mov_b32_e32 v13, v34
	v_mad_co_u64_u32 v[35:36], null, s8, v44, 0
	s_wait_dscnt 0x3
	s_delay_alu instid0(VALU_DEP_2) | instskip(SKIP_1) | instid1(VALU_DEP_2)
	v_mad_co_u64_u32 v[39:40], null, s9, v12, v[13:14]
	v_add_nc_u32_e32 v47, 0x111, v12
	v_dual_mov_b32 v13, v36 :: v_dual_mov_b32 v34, v39
	s_delay_alu instid0(VALU_DEP_2) | instskip(SKIP_1) | instid1(VALU_DEP_3)
	v_mad_co_u64_u32 v[40:41], null, s8, v47, 0
	v_add_nc_u32_e32 v46, 0xb6, v12
	v_mad_co_u64_u32 v[44:45], null, s9, v44, v[13:14]
	v_add_co_u32 v45, vcc_lo, s10, v8
	s_wait_alu 0xfffd
	v_add_co_ci_u32_e32 v52, vcc_lo, s11, v9, vcc_lo
	v_mov_b32_e32 v9, v41
	v_mad_co_u64_u32 v[37:38], null, s8, v46, 0
	v_add_nc_u32_e32 v51, 0x16c, v12
	v_lshlrev_b64_e32 v[33:34], 2, v[33:34]
	s_delay_alu instid0(VALU_DEP_3) | instskip(NEXT) | instid1(VALU_DEP_3)
	v_mov_b32_e32 v8, v38
	v_mad_co_u64_u32 v[42:43], null, s8, v51, 0
	s_delay_alu instid0(VALU_DEP_3) | instskip(NEXT) | instid1(VALU_DEP_3)
	v_add_co_u32 v33, vcc_lo, v45, v33
	v_mad_co_u64_u32 v[38:39], null, s9, v46, v[8:9]
	s_wait_alu 0xfffd
	v_add_co_ci_u32_e32 v34, vcc_lo, v52, v34, vcc_lo
	s_wait_loadcnt 0x2
	v_lshrrev_b32_e32 v13, 16, v1
	s_wait_loadcnt 0x1
	v_mad_co_u64_u32 v[8:9], null, s9, v47, v[9:10]
	v_mov_b32_e32 v36, v44
	v_lshrrev_b32_e32 v9, 16, v0
	v_mul_f16_e32 v44, v22, v0
	v_lshrrev_b32_e32 v47, 16, v11
	v_lshrrev_b32_e32 v39, 16, v2
	;; [unrolled: 1-line block ×4, first 2 shown]
	v_mul_f16_e32 v53, v25, v11
	v_mul_f16_e32 v54, v21, v1
	;; [unrolled: 1-line block ×4, first 2 shown]
	s_wait_loadcnt 0x0
	v_lshrrev_b32_e32 v57, 16, v4
	v_lshrrev_b32_e32 v58, 16, v5
	;; [unrolled: 1-line block ×4, first 2 shown]
	v_mul_f16_e32 v61, v23, v7
	v_mul_f16_e32 v62, v18, v3
	;; [unrolled: 1-line block ×5, first 2 shown]
	v_fmac_f16_e32 v44, v32, v9
	v_mul_f16_e32 v25, v25, v47
	v_mul_f16_e32 v9, v22, v9
	s_wait_dscnt 0x2
	v_fmac_f16_e32 v53, v48, v47
	v_fmac_f16_e32 v54, v31, v13
	s_wait_dscnt 0x1
	v_fmac_f16_e32 v55, v49, v46
	v_mul_f16_e32 v22, v24, v46
	v_mul_f16_e32 v13, v21, v13
	v_fmac_f16_e32 v56, v26, v39
	s_wait_dscnt 0x0
	v_fmac_f16_e32 v61, v50, v60
	v_mul_f16_e32 v21, v23, v60
	v_mul_f16_e32 v19, v19, v39
	v_fmac_f16_e32 v62, v27, v41
	v_fmac_f16_e32 v63, v29, v59
	v_mul_f16_e32 v20, v20, v59
	v_mul_f16_e32 v18, v18, v41
	v_fmac_f16_e32 v64, v28, v57
	v_fmac_f16_e32 v65, v30, v58
	v_mul_f16_e32 v17, v17, v58
	v_mul_f16_e32 v16, v16, v57
	v_fma_f16 v11, v48, v11, -v25
	v_fma_f16 v0, v32, v0, -v9
	v_sub_f16_e32 v23, v44, v53
	v_sub_f16_e32 v9, v54, v55
	v_fma_f16 v10, v49, v10, -v22
	v_fma_f16 v1, v31, v1, -v13
	v_sub_f16_e32 v13, v56, v61
	v_fma_f16 v7, v50, v7, -v21
	v_fma_f16 v2, v26, v2, -v19
	;; [unrolled: 3-line block ×4, first 2 shown]
	v_add_f16_e32 v16, v44, v53
	v_add_f16_e32 v17, v15, v44
	;; [unrolled: 1-line block ×3, first 2 shown]
	v_sub_f16_e32 v44, v0, v11
	v_add_f16_e32 v0, v0, v14
	v_add_f16_e32 v20, v54, v55
	v_mul_f16_e32 v25, 0xbb47, v23
	v_mul_f16_e32 v27, 0xba0c, v9
	v_add_f16_e32 v28, v1, v10
	v_mul_f16_e32 v29, 0x3482, v13
	v_add_f16_e32 v30, v2, v7
	;; [unrolled: 2-line block ×4, first 2 shown]
	v_mul_f16_e32 v46, 0xbbeb, v23
	v_mul_f16_e32 v47, 0x3482, v9
	;; [unrolled: 1-line block ×15, first 2 shown]
	v_sub_f16_e32 v72, v1, v10
	v_add_f16_e32 v17, v17, v54
	v_sub_f16_e32 v54, v2, v7
	v_sub_f16_e32 v73, v3, v6
	;; [unrolled: 1-line block ×3, first 2 shown]
	v_add_f16_e32 v0, v0, v1
	v_add_f16_e32 v21, v56, v61
	;; [unrolled: 1-line block ×4, first 2 shown]
	v_fmamk_f16 v75, v26, 0x36a6, v25
	v_fmamk_f16 v76, v28, 0xb93d, v27
	v_fmamk_f16 v77, v30, 0xbbad, v29
	v_fmamk_f16 v78, v32, 0xb08e, v31
	v_fmamk_f16 v79, v41, 0x3abb, v39
	v_mul_f16_e32 v80, 0xbb47, v44
	v_fmamk_f16 v81, v26, 0xb08e, v46
	v_fmamk_f16 v82, v28, 0xbbad, v47
	v_fmamk_f16 v83, v30, 0x36a6, v48
	v_fmamk_f16 v84, v32, 0x3abb, v49
	v_fmamk_f16 v85, v41, 0xb93d, v50
	v_mul_f16_e32 v86, 0xbbeb, v44
	v_fmamk_f16 v87, v26, 0xb93d, v57
	v_fmamk_f16 v88, v28, 0xb08e, v58
	v_fmamk_f16 v89, v30, 0x3abb, v59
	v_fmamk_f16 v90, v32, 0xbbad, v60
	v_fmamk_f16 v91, v41, 0x36a6, v66
	v_mul_f16_e32 v92, 0xba0c, v44
	v_fmamk_f16 v93, v26, 0xbbad, v67
	v_fmamk_f16 v94, v28, 0x3abb, v68
	;; [unrolled: 1-line block ×5, first 2 shown]
	v_fma_f16 v67, v26, 0xbbad, -v67
	v_fma_f16 v68, v28, 0x3abb, -v68
	;; [unrolled: 1-line block ×20, first 2 shown]
	v_mul_f16_e32 v26, 0x3abb, v26
	v_mul_f16_e32 v28, 0x36a6, v28
	;; [unrolled: 1-line block ×12, first 2 shown]
	v_add_f16_e32 v17, v17, v56
	v_mul_f16_e32 v56, 0xba0c, v54
	v_mul_f16_e32 v102, 0x3482, v54
	;; [unrolled: 1-line block ×15, first 2 shown]
	v_add_f16_e32 v0, v0, v2
	v_fmamk_f16 v113, v23, 0x3853, v26
	v_fmac_f16_e32 v26, 0xb853, v23
	v_fmamk_f16 v23, v9, 0x3b47, v28
	v_fmac_f16_e32 v28, 0xbb47, v9
	;; [unrolled: 2-line block ×5, first 2 shown]
	v_fma_f16 v18, v16, 0xbbad, -v98
	v_fmac_f16_e32 v98, 0xbbad, v16
	v_fma_f16 v114, v16, 0xb93d, -v92
	v_fmac_f16_e32 v92, 0xb93d, v16
	v_fma_f16 v115, v16, 0xb08e, -v86
	v_fmac_f16_e32 v86, 0xb08e, v16
	v_fma_f16 v116, v16, 0x36a6, -v80
	v_fmac_f16_e32 v80, 0x36a6, v16
	v_fmamk_f16 v117, v16, 0x3abb, v44
	v_fma_f16 v16, v16, 0x3abb, -v44
	v_fma_f16 v44, v20, 0x3abb, -v1
	v_fmac_f16_e32 v1, 0x3abb, v20
	v_fma_f16 v118, v20, 0xb08e, -v100
	v_fmac_f16_e32 v100, 0xb08e, v20
	v_fma_f16 v119, v20, 0xbbad, -v101
	v_fmac_f16_e32 v101, 0xbbad, v20
	v_fma_f16 v120, v20, 0xb93d, -v99
	v_fmac_f16_e32 v99, 0xb93d, v20
	v_fmamk_f16 v121, v20, 0x36a6, v72
	v_fma_f16 v20, v20, 0x36a6, -v72
	;; [unrolled: 10-line block ×3, first 2 shown]
	v_add_f16_e32 v17, v17, v62
	v_fma_f16 v54, v22, 0x36a6, -v105
	v_fmac_f16_e32 v105, 0x36a6, v22
	v_fma_f16 v62, v22, 0xbbad, -v107
	v_fmac_f16_e32 v107, 0xbbad, v22
	;; [unrolled: 2-line block ×4, first 2 shown]
	v_fmamk_f16 v127, v22, 0xb93d, v73
	v_fma_f16 v22, v22, 0xb93d, -v73
	v_fma_f16 v73, v24, 0xb08e, -v112
	v_fmac_f16_e32 v112, 0xb08e, v24
	v_fma_f16 v128, v24, 0x36a6, -v111
	v_fmac_f16_e32 v111, 0x36a6, v24
	;; [unrolled: 2-line block ×4, first 2 shown]
	v_fma_f16 v131, 0xbbad, v24, v74
	v_fma_f16 v24, v24, 0xbbad, -v74
	v_add_f16_e32 v74, v14, v75
	v_add_f16_e32 v75, v14, v81
	;; [unrolled: 1-line block ×64, first 2 shown]
	v_add_f16_e64 v17, v20, v129
	v_add_f16_e64 v20, v23, v128
	v_add_f16_e32 v23, v1, v112
	v_add_f16_e32 v1, v55, v13
	;; [unrolled: 1-line block ×7, first 2 shown]
	v_mov_b32_e32 v41, v8
	v_lshlrev_b64_e32 v[35:36], 2, v[35:36]
	v_add_f16_e32 v1, v53, v1
	v_add_f16_e32 v0, v11, v0
	;; [unrolled: 1-line block ×3, first 2 shown]
	v_add_f16_e64 v6, v9, v131
	v_add_f16_e32 v2, v2, v54
	v_add_f16_e32 v25, v25, v29
	v_pack_b32_f16 v4, v1, v0
	v_add_co_u32 v0, vcc_lo, v45, v35
	v_add_f16_e32 v29, v80, v99
	v_add_f16_e32 v24, v5, v24
	s_wait_alu 0xfffd
	v_add_co_ci_u32_e32 v1, vcc_lo, v52, v36, vcc_lo
	v_pack_b32_f16 v5, v6, v3
	v_add_f16_e32 v22, v2, v73
	v_dual_mov_b32 v2, v43 :: v_dual_add_nc_u32 v9, 0x1c7, v12
	v_add_f16_e32 v29, v29, v102
	s_clause 0x1
	global_store_b32 v[33:34], v4, off
	global_store_b32 v[0:1], v5, off
	v_lshlrev_b64_e32 v[0:1], 2, v[37:38]
	v_mad_co_u64_u32 v[2:3], null, s9, v51, v[2:3]
	v_mad_co_u64_u32 v[5:6], null, s8, v9, 0
	v_add_f16_e32 v76, v81, v88
	v_add_f16_e32 v58, v64, v100
	;; [unrolled: 1-line block ×4, first 2 shown]
	v_lshlrev_b64_e32 v[3:4], 2, v[40:41]
	v_add_f16_e32 v25, v25, v31
	v_add_f16_e32 v29, v29, v106
	v_add_co_u32 v0, vcc_lo, v45, v0
	v_add_f16_e32 v75, v76, v89
	v_add_f16_e32 v44, v67, v69
	v_add_f16_e32 v57, v57, v59
	v_add_f16_e32 v56, v58, v103
	v_add_f16_e32 v48, v48, v104
	s_wait_alu 0xfffd
	v_add_co_ci_u32_e32 v1, vcc_lo, v52, v1, vcc_lo
	v_add_f16_e32 v25, v25, v39
	v_add_f16_e32 v7, v29, v109
	v_dual_mov_b32 v43, v2 :: v_dual_mov_b32 v2, v6
	v_add_co_u32 v3, vcc_lo, v45, v3
	v_add_f16_e32 v27, v75, v90
	v_add_f16_e32 v18, v44, v70
	;; [unrolled: 1-line block ×6, first 2 shown]
	v_pack_b32_f16 v11, v7, v25
	v_lshlrev_b64_e32 v[7:8], 2, v[42:43]
	v_mad_co_u64_u32 v[9:10], null, s9, v9, v[2:3]
	v_add_f16_e32 v21, v27, v91
	v_add_f16_e32 v27, v44, v66
	;; [unrolled: 1-line block ×5, first 2 shown]
	s_wait_alu 0xfffd
	v_add_co_ci_u32_e32 v4, vcc_lo, v52, v4, vcc_lo
	v_add_co_u32 v7, vcc_lo, v45, v7
	s_delay_alu instid0(VALU_DEP_3)
	v_pack_b32_f16 v2, v28, v30
	s_wait_alu 0xfffd
	v_add_co_ci_u32_e32 v8, vcc_lo, v52, v8, vcc_lo
	v_pack_b32_f16 v10, v13, v27
	v_dual_mov_b32 v6, v9 :: v_dual_add_nc_u32 v9, 0x222, v12
	v_add_nc_u32_e32 v13, 0x2d8, v12
	s_clause 0x2
	global_store_b32 v[0:1], v11, off
	global_store_b32 v[3:4], v2, off
	;; [unrolled: 1-line block ×3, first 2 shown]
	v_lshlrev_b64_e32 v[0:1], 2, v[5:6]
	v_mad_co_u64_u32 v[6:7], null, s8, v13, 0
	v_add_nc_u32_e32 v10, 0x27d, v12
	v_mad_co_u64_u32 v[2:3], null, s8, v9, 0
	v_add_f16_e32 v18, v18, v71
	v_add_co_u32 v0, vcc_lo, v45, v0
	s_delay_alu instid0(VALU_DEP_4) | instskip(NEXT) | instid1(VALU_DEP_3)
	v_mad_co_u64_u32 v[4:5], null, s8, v10, 0
	v_pack_b32_f16 v18, v23, v18
	v_add_nc_u32_e32 v23, 0x333, v12
	s_wait_alu 0xfffd
	v_add_co_ci_u32_e32 v1, vcc_lo, v52, v1, vcc_lo
	v_add_nc_u32_e32 v12, 0x38e, v12
	v_add_f16_e32 v81, v87, v94
	v_mad_co_u64_u32 v[8:9], null, s9, v9, v[3:4]
	v_mad_co_u64_u32 v[9:10], null, s9, v10, v[5:6]
	v_mov_b32_e32 v5, v7
	v_mad_co_u64_u32 v[10:11], null, s8, v23, 0
	global_store_b32 v[0:1], v18, off
	v_mov_b32_e32 v3, v8
	v_add_f16_e32 v76, v81, v95
	v_add_f16_e64 v15, v15, v130
	s_delay_alu instid0(VALU_DEP_3) | instskip(SKIP_4) | instid1(VALU_DEP_4)
	v_lshlrev_b64_e32 v[0:1], 2, v[2:3]
	v_mov_b32_e32 v2, v11
	v_mad_co_u64_u32 v[7:8], null, s9, v13, v[5:6]
	v_mov_b32_e32 v5, v9
	v_mad_co_u64_u32 v[8:9], null, s8, v12, 0
	v_mad_co_u64_u32 v[2:3], null, s9, v23, v[2:3]
	s_delay_alu instid0(VALU_DEP_3)
	v_lshlrev_b64_e32 v[4:5], 2, v[4:5]
	v_add_co_u32 v0, vcc_lo, v45, v0
	v_add_f16_e32 v47, v76, v96
	v_mov_b32_e32 v3, v9
	s_wait_alu 0xfffd
	v_add_co_ci_u32_e32 v1, vcc_lo, v52, v1, vcc_lo
	v_mov_b32_e32 v11, v2
	v_lshlrev_b64_e32 v[6:7], 2, v[6:7]
	v_mad_co_u64_u32 v[12:13], null, s9, v12, v[3:4]
	v_add_co_u32 v2, vcc_lo, v45, v4
	s_wait_alu 0xfffd
	v_add_co_ci_u32_e32 v3, vcc_lo, v52, v5, vcc_lo
	v_lshlrev_b64_e32 v[4:5], 2, v[10:11]
	v_add_f16_e32 v26, v47, v97
	v_mov_b32_e32 v9, v12
	v_add_co_u32 v6, vcc_lo, v45, v6
	s_wait_alu 0xfffd
	v_add_co_ci_u32_e32 v7, vcc_lo, v52, v7, vcc_lo
	s_delay_alu instid0(VALU_DEP_3)
	v_lshlrev_b64_e32 v[8:9], 2, v[8:9]
	v_add_co_u32 v4, vcc_lo, v45, v4
	v_pack_b32_f16 v18, v22, v26
	v_pack_b32_f16 v13, v20, v21
	s_wait_alu 0xfffd
	v_add_co_ci_u32_e32 v5, vcc_lo, v52, v5, vcc_lo
	v_pack_b32_f16 v10, v17, v16
	v_add_co_u32 v8, vcc_lo, v45, v8
	v_pack_b32_f16 v11, v15, v14
	s_wait_alu 0xfffd
	v_add_co_ci_u32_e32 v9, vcc_lo, v52, v9, vcc_lo
	v_pack_b32_f16 v12, v24, v19
	s_clause 0x4
	global_store_b32 v[0:1], v18, off
	global_store_b32 v[2:3], v13, off
	;; [unrolled: 1-line block ×5, first 2 shown]
.LBB0_27:
	s_nop 0
	s_sendmsg sendmsg(MSG_DEALLOC_VGPRS)
	s_endpgm
	.section	.rodata,"a",@progbits
	.p2align	6, 0x0
	.amdhsa_kernel fft_rtc_back_len1001_factors_13_7_11_wgs_182_tpt_91_halfLds_half_ip_CI_sbrr_dirReg
		.amdhsa_group_segment_fixed_size 0
		.amdhsa_private_segment_fixed_size 0
		.amdhsa_kernarg_size 88
		.amdhsa_user_sgpr_count 2
		.amdhsa_user_sgpr_dispatch_ptr 0
		.amdhsa_user_sgpr_queue_ptr 0
		.amdhsa_user_sgpr_kernarg_segment_ptr 1
		.amdhsa_user_sgpr_dispatch_id 0
		.amdhsa_user_sgpr_private_segment_size 0
		.amdhsa_wavefront_size32 1
		.amdhsa_uses_dynamic_stack 0
		.amdhsa_enable_private_segment 0
		.amdhsa_system_sgpr_workgroup_id_x 1
		.amdhsa_system_sgpr_workgroup_id_y 0
		.amdhsa_system_sgpr_workgroup_id_z 0
		.amdhsa_system_sgpr_workgroup_info 0
		.amdhsa_system_vgpr_workitem_id 0
		.amdhsa_next_free_vgpr 132
		.amdhsa_next_free_sgpr 35
		.amdhsa_reserve_vcc 1
		.amdhsa_float_round_mode_32 0
		.amdhsa_float_round_mode_16_64 0
		.amdhsa_float_denorm_mode_32 3
		.amdhsa_float_denorm_mode_16_64 3
		.amdhsa_fp16_overflow 0
		.amdhsa_workgroup_processor_mode 1
		.amdhsa_memory_ordered 1
		.amdhsa_forward_progress 0
		.amdhsa_round_robin_scheduling 0
		.amdhsa_exception_fp_ieee_invalid_op 0
		.amdhsa_exception_fp_denorm_src 0
		.amdhsa_exception_fp_ieee_div_zero 0
		.amdhsa_exception_fp_ieee_overflow 0
		.amdhsa_exception_fp_ieee_underflow 0
		.amdhsa_exception_fp_ieee_inexact 0
		.amdhsa_exception_int_div_zero 0
	.end_amdhsa_kernel
	.text
.Lfunc_end0:
	.size	fft_rtc_back_len1001_factors_13_7_11_wgs_182_tpt_91_halfLds_half_ip_CI_sbrr_dirReg, .Lfunc_end0-fft_rtc_back_len1001_factors_13_7_11_wgs_182_tpt_91_halfLds_half_ip_CI_sbrr_dirReg
                                        ; -- End function
	.section	.AMDGPU.csdata,"",@progbits
; Kernel info:
; codeLenInByte = 11392
; NumSgprs: 37
; NumVgprs: 132
; ScratchSize: 0
; MemoryBound: 0
; FloatMode: 240
; IeeeMode: 1
; LDSByteSize: 0 bytes/workgroup (compile time only)
; SGPRBlocks: 4
; VGPRBlocks: 16
; NumSGPRsForWavesPerEU: 37
; NumVGPRsForWavesPerEU: 132
; Occupancy: 10
; WaveLimiterHint : 1
; COMPUTE_PGM_RSRC2:SCRATCH_EN: 0
; COMPUTE_PGM_RSRC2:USER_SGPR: 2
; COMPUTE_PGM_RSRC2:TRAP_HANDLER: 0
; COMPUTE_PGM_RSRC2:TGID_X_EN: 1
; COMPUTE_PGM_RSRC2:TGID_Y_EN: 0
; COMPUTE_PGM_RSRC2:TGID_Z_EN: 0
; COMPUTE_PGM_RSRC2:TIDIG_COMP_CNT: 0
	.text
	.p2alignl 7, 3214868480
	.fill 96, 4, 3214868480
	.type	__hip_cuid_34a809004a8757b6,@object ; @__hip_cuid_34a809004a8757b6
	.section	.bss,"aw",@nobits
	.globl	__hip_cuid_34a809004a8757b6
__hip_cuid_34a809004a8757b6:
	.byte	0                               ; 0x0
	.size	__hip_cuid_34a809004a8757b6, 1

	.ident	"AMD clang version 19.0.0git (https://github.com/RadeonOpenCompute/llvm-project roc-6.4.0 25133 c7fe45cf4b819c5991fe208aaa96edf142730f1d)"
	.section	".note.GNU-stack","",@progbits
	.addrsig
	.addrsig_sym __hip_cuid_34a809004a8757b6
	.amdgpu_metadata
---
amdhsa.kernels:
  - .args:
      - .actual_access:  read_only
        .address_space:  global
        .offset:         0
        .size:           8
        .value_kind:     global_buffer
      - .offset:         8
        .size:           8
        .value_kind:     by_value
      - .actual_access:  read_only
        .address_space:  global
        .offset:         16
        .size:           8
        .value_kind:     global_buffer
      - .actual_access:  read_only
        .address_space:  global
        .offset:         24
        .size:           8
        .value_kind:     global_buffer
      - .offset:         32
        .size:           8
        .value_kind:     by_value
      - .actual_access:  read_only
        .address_space:  global
        .offset:         40
        .size:           8
        .value_kind:     global_buffer
      - .actual_access:  read_only
        .address_space:  global
        .offset:         48
        .size:           8
        .value_kind:     global_buffer
      - .offset:         56
        .size:           4
        .value_kind:     by_value
      - .actual_access:  read_only
        .address_space:  global
        .offset:         64
        .size:           8
        .value_kind:     global_buffer
      - .actual_access:  read_only
        .address_space:  global
        .offset:         72
        .size:           8
        .value_kind:     global_buffer
      - .address_space:  global
        .offset:         80
        .size:           8
        .value_kind:     global_buffer
    .group_segment_fixed_size: 0
    .kernarg_segment_align: 8
    .kernarg_segment_size: 88
    .language:       OpenCL C
    .language_version:
      - 2
      - 0
    .max_flat_workgroup_size: 182
    .name:           fft_rtc_back_len1001_factors_13_7_11_wgs_182_tpt_91_halfLds_half_ip_CI_sbrr_dirReg
    .private_segment_fixed_size: 0
    .sgpr_count:     37
    .sgpr_spill_count: 0
    .symbol:         fft_rtc_back_len1001_factors_13_7_11_wgs_182_tpt_91_halfLds_half_ip_CI_sbrr_dirReg.kd
    .uniform_work_group_size: 1
    .uses_dynamic_stack: false
    .vgpr_count:     132
    .vgpr_spill_count: 0
    .wavefront_size: 32
    .workgroup_processor_mode: 1
amdhsa.target:   amdgcn-amd-amdhsa--gfx1201
amdhsa.version:
  - 1
  - 2
...

	.end_amdgpu_metadata
